;; amdgpu-corpus repo=ROCm/rocFFT kind=compiled arch=gfx1201 opt=O3
	.text
	.amdgcn_target "amdgcn-amd-amdhsa--gfx1201"
	.amdhsa_code_object_version 6
	.protected	bluestein_single_fwd_len1683_dim1_sp_op_CI_CI ; -- Begin function bluestein_single_fwd_len1683_dim1_sp_op_CI_CI
	.globl	bluestein_single_fwd_len1683_dim1_sp_op_CI_CI
	.p2align	8
	.type	bluestein_single_fwd_len1683_dim1_sp_op_CI_CI,@function
bluestein_single_fwd_len1683_dim1_sp_op_CI_CI: ; @bluestein_single_fwd_len1683_dim1_sp_op_CI_CI
; %bb.0:
	s_load_b128 s[12:15], s[0:1], 0x28
	v_mul_u32_u24_e32 v1, 0x506, v0
	s_mov_b32 s2, exec_lo
	v_mov_b32_e32 v5, 0
	s_delay_alu instid0(VALU_DEP_2) | instskip(NEXT) | instid1(VALU_DEP_1)
	v_lshrrev_b32_e32 v1, 16, v1
	v_add_nc_u32_e32 v4, ttmp9, v1
	s_wait_kmcnt 0x0
	s_delay_alu instid0(VALU_DEP_1)
	v_cmpx_gt_u64_e64 s[12:13], v[4:5]
	s_cbranch_execz .LBB0_15
; %bb.1:
	s_clause 0x1
	s_load_b128 s[4:7], s[0:1], 0x18
	s_load_b64 s[12:13], s[0:1], 0x0
	v_mul_lo_u16 v1, v1, 51
	v_mov_b32_e32 v5, v4
	s_delay_alu instid0(VALU_DEP_2) | instskip(SKIP_2) | instid1(VALU_DEP_1)
	v_sub_nc_u16 v49, v0, v1
	scratch_store_b64 off, v[5:6], off offset:32 ; 8-byte Folded Spill
	v_and_b32_e32 v236, 0xffff, v49
	v_lshlrev_b32_e32 v239, 3, v236
	v_or_b32_e32 v229, 0x600, v236
	s_wait_kmcnt 0x0
	s_load_b128 s[8:11], s[4:5], 0x0
	s_clause 0xe
	global_load_b64 v[74:75], v239, s[12:13]
	global_load_b64 v[76:77], v239, s[12:13] offset:792
	global_load_b64 v[66:67], v239, s[12:13] offset:1584
	;; [unrolled: 1-line block ×14, first 2 shown]
	s_wait_kmcnt 0x0
	v_mad_co_u64_u32 v[0:1], null, s10, v4, 0
	v_mad_co_u64_u32 v[2:3], null, s8, v236, 0
	s_mul_u64 s[2:3], s[8:9], 0x63
	s_delay_alu instid0(VALU_DEP_1) | instskip(NEXT) | instid1(VALU_DEP_1)
	v_mad_co_u64_u32 v[4:5], null, s11, v4, v[1:2]
	v_mad_co_u64_u32 v[5:6], null, s9, v236, v[3:4]
	v_mov_b32_e32 v1, v4
	s_delay_alu instid0(VALU_DEP_1) | instskip(NEXT) | instid1(VALU_DEP_3)
	v_lshlrev_b64_e32 v[0:1], 3, v[0:1]
	v_mov_b32_e32 v3, v5
	s_delay_alu instid0(VALU_DEP_1) | instskip(NEXT) | instid1(VALU_DEP_3)
	v_lshlrev_b64_e32 v[4:5], 3, v[2:3]
	v_add_co_u32 v2, vcc_lo, s14, v0
	s_delay_alu instid0(VALU_DEP_4) | instskip(SKIP_1) | instid1(VALU_DEP_2)
	v_add_co_ci_u32_e32 v3, vcc_lo, s15, v1, vcc_lo
	s_lshl_b64 s[14:15], s[2:3], 3
	v_add_co_u32 v0, vcc_lo, v2, v4
	s_wait_alu 0xfffd
	s_delay_alu instid0(VALU_DEP_2) | instskip(SKIP_1) | instid1(VALU_DEP_2)
	v_add_co_ci_u32_e32 v1, vcc_lo, v3, v5, vcc_lo
	s_wait_alu 0xfffe
	v_add_co_u32 v4, vcc_lo, v0, s14
	s_wait_alu 0xfffd
	s_delay_alu instid0(VALU_DEP_2) | instskip(SKIP_4) | instid1(VALU_DEP_2)
	v_add_co_ci_u32_e32 v5, vcc_lo, s15, v1, vcc_lo
	global_load_b64 v[11:12], v[0:1], off
	v_add_co_u32 v6, vcc_lo, v4, s14
	s_wait_alu 0xfffd
	v_add_co_ci_u32_e32 v7, vcc_lo, s15, v5, vcc_lo
	v_add_co_u32 v8, vcc_lo, v6, s14
	s_wait_alu 0xfffd
	s_delay_alu instid0(VALU_DEP_2)
	v_add_co_ci_u32_e32 v9, vcc_lo, s15, v7, vcc_lo
	s_clause 0x2
	global_load_b64 v[13:14], v[4:5], off
	global_load_b64 v[15:16], v[6:7], off
	;; [unrolled: 1-line block ×3, first 2 shown]
	v_add_co_u32 v0, vcc_lo, v8, s14
	s_wait_alu 0xfffd
	v_add_co_ci_u32_e32 v1, vcc_lo, s15, v9, vcc_lo
	s_delay_alu instid0(VALU_DEP_2) | instskip(SKIP_1) | instid1(VALU_DEP_2)
	v_add_co_u32 v4, vcc_lo, v0, s14
	s_wait_alu 0xfffd
	v_add_co_ci_u32_e32 v5, vcc_lo, s15, v1, vcc_lo
	global_load_b64 v[19:20], v[0:1], off
	v_add_co_u32 v0, vcc_lo, v4, s14
	s_wait_alu 0xfffd
	v_add_co_ci_u32_e32 v1, vcc_lo, s15, v5, vcc_lo
	global_load_b64 v[21:22], v[4:5], off
	;; [unrolled: 4-line block ×11, first 2 shown]
	v_add_co_u32 v0, vcc_lo, v4, s14
	s_wait_alu 0xfffd
	v_add_co_ci_u32_e32 v1, vcc_lo, s15, v5, vcc_lo
	v_cmp_gt_u16_e32 vcc_lo, 48, v49
	s_wait_loadcnt 0xe
	v_mul_f32_e32 v45, v12, v75
	s_wait_loadcnt 0xd
	s_delay_alu instid0(VALU_DEP_1)
	v_dual_fmac_f32 v45, v11, v74 :: v_dual_mul_f32 v48, v13, v77
	global_load_b64 v[60:61], v239, s[12:13] offset:11880
	global_load_b64 v[41:42], v[4:5], off
	global_load_b64 v[62:63], v239, s[12:13] offset:12672
	global_load_b64 v[43:44], v[0:1], off
	v_dual_mul_f32 v47, v14, v77 :: v_dual_add_nc_u32 v4, 0x1c00, v239
	v_mul_f32_e32 v9, v11, v75
	v_add_nc_u32_e32 v6, 0x2400, v239
	v_fma_f32 v48, v14, v76, -v48
	s_wait_loadcnt 0x10
	v_mul_f32_e32 v11, v16, v67
	v_fmac_f32_e32 v47, v13, v76
	v_fma_f32 v46, v12, v74, -v9
	s_wait_loadcnt 0xf
	v_dual_mul_f32 v12, v15, v67 :: v_dual_mul_f32 v13, v18, v73
	s_load_b64 s[10:11], s[0:1], 0x38
	s_load_b128 s[4:7], s[6:7], 0x0
	v_dual_mul_f32 v14, v17, v73 :: v_dual_add_nc_u32 v7, 0x1000, v239
	v_add_nc_u32_e32 v5, 0x1800, v239
	ds_store_2addr_b64 v239, v[45:46], v[47:48] offset1:99
	v_fmac_f32_e32 v11, v15, v66
	v_fma_f32 v12, v16, v66, -v12
	v_fmac_f32_e32 v13, v17, v72
	s_wait_loadcnt 0xe
	v_mul_f32_e32 v15, v20, v69
	s_wait_loadcnt 0xd
	v_dual_mul_f32 v16, v19, v69 :: v_dual_mul_f32 v17, v22, v71
	v_mul_f32_e32 v45, v21, v71
	v_add_nc_u32_e32 v10, 0x400, v239
	v_add_nc_u32_e32 v8, 0x800, v239
	v_fma_f32 v14, v18, v72, -v14
	v_fmac_f32_e32 v15, v19, v68
	v_fma_f32 v16, v20, v68, -v16
	v_fmac_f32_e32 v17, v21, v70
	v_fma_f32 v18, v22, v70, -v45
	s_wait_loadcnt 0xc
	v_mul_f32_e32 v20, v23, v65
	v_mul_f32_e32 v19, v24, v65
	v_add_nc_u32_e32 v9, 0x2800, v239
	v_add_co_u32 v200, s2, s12, v239
	s_delay_alu instid0(VALU_DEP_4) | instskip(NEXT) | instid1(VALU_DEP_4)
	v_fma_f32 v20, v24, v64, -v20
	v_fmac_f32_e32 v19, v23, v64
	v_add_co_ci_u32_e64 v201, null, s13, 0, s2
	s_clause 0xa
	scratch_store_b64 off, v[74:75], off offset:104
	scratch_store_b64 off, v[76:77], off offset:112
	;; [unrolled: 1-line block ×10, first 2 shown]
	scratch_store_b64 off, v[50:51], off
	s_wait_loadcnt 0x3
	scratch_store_b64 off, v[60:61], off offset:48 ; 8-byte Folded Spill
	s_wait_loadcnt 0x2
	v_mul_f32_e32 v21, v42, v61
	s_wait_loadcnt 0x1
	scratch_store_b64 off, v[62:63], off offset:56 ; 8-byte Folded Spill
	s_wait_loadcnt 0x0
	v_mul_f32_e32 v24, v43, v63
	ds_store_2addr_b64 v8, v[15:16], v[17:18] offset0:140 offset1:239
	v_mul_f32_e32 v15, v30, v235
	v_mul_f32_e32 v16, v29, v235
	ds_store_2addr_b64 v10, v[11:12], v[13:14] offset0:70 offset1:169
	v_mul_f32_e32 v13, v28, v57
	v_dual_mul_f32 v14, v27, v57 :: v_dual_mul_f32 v11, v26, v59
	v_mul_f32_e32 v12, v25, v59
	v_fmac_f32_e32 v15, v29, v234
	s_delay_alu instid0(VALU_DEP_4) | instskip(NEXT) | instid1(VALU_DEP_4)
	v_fmac_f32_e32 v13, v27, v56
	v_fma_f32 v14, v28, v56, -v14
	v_fma_f32 v16, v30, v234, -v16
	v_fmac_f32_e32 v11, v25, v58
	v_fma_f32 v12, v26, v58, -v12
	v_dual_mul_f32 v17, v34, v55 :: v_dual_mul_f32 v22, v41, v61
	ds_store_2addr_b64 v5, v[13:14], v[15:16] offset0:24 offset1:123
	v_mul_f32_e32 v14, v33, v55
	ds_store_2addr_b64 v7, v[19:20], v[11:12] offset0:82 offset1:181
	v_mul_f32_e32 v11, v32, v53
	v_dual_mul_f32 v12, v31, v53 :: v_dual_mul_f32 v13, v36, v231
	v_fma_f32 v18, v34, v54, -v14
	v_mul_f32_e32 v14, v35, v231
	v_mul_f32_e32 v15, v38, v51
	v_dual_mul_f32 v16, v37, v51 :: v_dual_mul_f32 v19, v40, v233
	v_dual_mul_f32 v20, v39, v233 :: v_dual_mul_f32 v23, v44, v63
	v_fmac_f32_e32 v11, v31, v52
	v_fma_f32 v12, v32, v52, -v12
	v_fmac_f32_e32 v17, v33, v54
	v_fmac_f32_e32 v13, v35, v230
	v_fma_f32 v14, v36, v230, -v14
	v_fmac_f32_e32 v15, v37, v50
	v_fma_f32 v16, v38, v50, -v16
	;; [unrolled: 2-line block ×5, first 2 shown]
	scratch_store_b64 off, v[64:65], off offset:64 ; 8-byte Folded Spill
	ds_store_2addr_b64 v4, v[11:12], v[17:18] offset0:94 offset1:193
	ds_store_2addr_b64 v6, v[13:14], v[15:16] offset0:36 offset1:135
	;; [unrolled: 1-line block ×3, first 2 shown]
	ds_store_b64 v239, v[23:24] offset:12672
	s_and_saveexec_b32 s3, vcc_lo
	s_cbranch_execz .LBB0_3
; %bb.2:
	v_mad_co_u64_u32 v[0:1], null, 0xffffd018, s8, v[0:1]
	s_mul_i32 s2, s9, 0xffffd018
	s_clause 0x3
	global_load_b64 v[15:16], v[200:201], off offset:408
	global_load_b64 v[17:18], v[200:201], off offset:1200
	;; [unrolled: 1-line block ×4, first 2 shown]
	s_wait_alu 0xfffe
	s_sub_co_i32 s2, s2, s8
	v_mad_co_u64_u32 v[25:26], null, s8, v229, 0
	s_wait_alu 0xfffe
	v_add_nc_u32_e32 v1, s2, v1
	v_add_co_u32 v11, s2, v0, s14
	s_wait_alu 0xf1ff
	s_delay_alu instid0(VALU_DEP_2) | instskip(NEXT) | instid1(VALU_DEP_2)
	v_add_co_ci_u32_e64 v12, s2, s15, v1, s2
	v_add_co_u32 v13, s2, v11, s14
	s_wait_alu 0xf1ff
	s_delay_alu instid0(VALU_DEP_2) | instskip(NEXT) | instid1(VALU_DEP_2)
	v_add_co_ci_u32_e64 v14, s2, s15, v12, s2
	;; [unrolled: 4-line block ×3, first 2 shown]
	v_add_co_u32 v27, s2, v23, s14
	s_wait_alu 0xf1ff
	s_delay_alu instid0(VALU_DEP_2)
	v_add_co_ci_u32_e64 v28, s2, s15, v24, s2
	global_load_b64 v[0:1], v[0:1], off
	global_load_b64 v[11:12], v[11:12], off
	global_load_b64 v[13:14], v[13:14], off
	global_load_b64 v[23:24], v[23:24], off
	global_load_b64 v[29:30], v[27:28], off
	v_add_co_u32 v27, s2, v27, s14
	s_wait_alu 0xf1ff
	v_add_co_ci_u32_e64 v28, s2, s15, v28, s2
	global_load_b64 v[31:32], v[200:201], off offset:3576
	v_add_co_u32 v33, s2, v27, s14
	s_wait_alu 0xf1ff
	v_add_co_ci_u32_e64 v34, s2, s15, v28, s2
	v_mad_co_u64_u32 v[37:38], null, s9, v229, v[26:27]
	s_delay_alu instid0(VALU_DEP_3) | instskip(SKIP_1) | instid1(VALU_DEP_3)
	v_add_co_u32 v35, s2, v33, s14
	s_wait_alu 0xf1ff
	v_add_co_ci_u32_e64 v36, s2, s15, v34, s2
	global_load_b64 v[27:28], v[27:28], off
	global_load_b64 v[33:34], v[33:34], off
	global_load_b64 v[38:39], v[35:36], off
	v_mov_b32_e32 v26, v37
	v_add_co_u32 v35, s2, v35, s14
	s_wait_alu 0xf1ff
	v_add_co_ci_u32_e64 v36, s2, s15, v36, s2
	s_delay_alu instid0(VALU_DEP_3) | instskip(NEXT) | instid1(VALU_DEP_3)
	v_lshlrev_b64_e32 v[25:26], 3, v[25:26]
	v_add_co_u32 v40, s2, v35, s14
	s_wait_alu 0xf1ff
	s_delay_alu instid0(VALU_DEP_3) | instskip(NEXT) | instid1(VALU_DEP_2)
	v_add_co_ci_u32_e64 v41, s2, s15, v36, s2
	v_add_co_u32 v42, s2, v40, s14
	s_wait_alu 0xf1ff
	s_delay_alu instid0(VALU_DEP_2)
	v_add_co_ci_u32_e64 v43, s2, s15, v41, s2
	v_add_co_u32 v2, s2, v2, v25
	s_wait_alu 0xf1ff
	v_add_co_ci_u32_e64 v3, s2, v3, v26, s2
	v_add_co_u32 v25, s2, v42, s14
	s_wait_alu 0xf1ff
	v_add_co_ci_u32_e64 v26, s2, s15, v43, s2
	global_load_b64 v[2:3], v[2:3], off
	global_load_b64 v[44:45], v[200:201], off offset:12288
	v_add_co_u32 v46, s2, v25, s14
	s_wait_alu 0xf1ff
	v_add_co_ci_u32_e64 v47, s2, s15, v26, s2
	s_clause 0x2
	global_load_b64 v[48:49], v[200:201], off offset:4368
	global_load_b64 v[50:51], v[200:201], off offset:5160
	;; [unrolled: 1-line block ×3, first 2 shown]
	v_add_co_u32 v54, s2, v46, s14
	s_wait_alu 0xf1ff
	v_add_co_ci_u32_e64 v55, s2, s15, v47, s2
	global_load_b64 v[35:36], v[35:36], off
	v_add_co_u32 v56, s2, v54, s14
	s_wait_alu 0xf1ff
	v_add_co_ci_u32_e64 v57, s2, s15, v55, s2
	global_load_b64 v[40:41], v[40:41], off
	s_clause 0x1
	global_load_b64 v[58:59], v[200:201], off offset:6744
	global_load_b64 v[60:61], v[200:201], off offset:7536
	global_load_b64 v[42:43], v[42:43], off
	global_load_b64 v[64:65], v[200:201], off offset:8328
	global_load_b64 v[25:26], v[25:26], off
	global_load_b64 v[66:67], v[200:201], off offset:9120
	v_mad_co_u64_u32 v[62:63], null, 0x630, s8, v[56:57]
	s_delay_alu instid0(VALU_DEP_1)
	v_mov_b32_e32 v37, v63
	s_wait_loadcnt 0x15
	v_mul_f32_e32 v77, v1, v16
	v_mul_f32_e32 v78, v0, v16
	s_wait_loadcnt 0x14
	v_dual_mul_f32 v16, v12, v18 :: v_dual_add_nc_u32 v79, 0x2c00, v239
	s_delay_alu instid0(VALU_DEP_3)
	v_dual_mul_f32 v18, v11, v18 :: v_dual_fmac_f32 v77, v0, v15
	s_wait_loadcnt 0x13
	v_mul_f32_e32 v0, v14, v20
	v_fma_f32 v78, v1, v15, -v78
	v_dual_fmac_f32 v16, v11, v17 :: v_dual_mul_f32 v1, v13, v20
	s_wait_loadcnt 0x12
	s_delay_alu instid0(VALU_DEP_3)
	v_dual_mul_f32 v11, v24, v22 :: v_dual_fmac_f32 v0, v13, v19
	s_wait_loadcnt 0x10
	v_mul_f32_e32 v13, v30, v32
	v_fma_f32 v17, v12, v17, -v18
	v_mul_f32_e32 v12, v23, v22
	v_fma_f32 v1, v14, v19, -v1
	v_dual_fmac_f32 v11, v23, v21 :: v_dual_mul_f32 v14, v29, v32
	s_delay_alu instid0(VALU_DEP_3)
	v_fma_f32 v12, v24, v21, -v12
	s_wait_loadcnt 0xd
	v_mad_co_u64_u32 v[68:69], null, 0x630, s9, v[37:38]
	global_load_b64 v[46:47], v[46:47], off
	global_load_b64 v[69:70], v[200:201], off offset:9912
	global_load_b64 v[54:55], v[54:55], off
	global_load_b64 v[71:72], v[200:201], off offset:10704
	v_add_nc_u32_e32 v37, 0xc00, v239
	v_fma_f32 v14, v30, v31, -v14
	v_mov_b32_e32 v63, v68
	global_load_b64 v[73:74], v[200:201], off offset:11496
	global_load_b64 v[56:57], v[56:57], off
	global_load_b64 v[75:76], v[200:201], off offset:13080
	global_load_b64 v[62:63], v[62:63], off
	ds_store_2addr_b64 v239, v[77:78], v[16:17] offset0:51 offset1:150
	v_add_nc_u32_e32 v68, 0x2000, v239
	ds_store_2addr_b64 v10, v[0:1], v[11:12] offset0:121 offset1:220
	s_wait_loadcnt 0x13
	v_mul_f32_e32 v15, v3, v45
	s_wait_loadcnt 0x12
	v_mul_f32_e32 v0, v28, v49
	v_dual_mul_f32 v16, v2, v45 :: v_dual_fmac_f32 v13, v29, v31
	s_delay_alu instid0(VALU_DEP_3) | instskip(SKIP_2) | instid1(VALU_DEP_3)
	v_fmac_f32_e32 v15, v2, v44
	s_wait_loadcnt 0x11
	v_dual_mul_f32 v2, v34, v51 :: v_dual_mul_f32 v1, v27, v49
	v_fma_f32 v16, v3, v44, -v16
	v_dual_mul_f32 v3, v33, v51 :: v_dual_fmac_f32 v0, v27, v48
	s_wait_loadcnt 0x10
	s_delay_alu instid0(VALU_DEP_3)
	v_dual_mul_f32 v11, v39, v53 :: v_dual_fmac_f32 v2, v33, v50
	v_fma_f32 v1, v28, v48, -v1
	s_wait_loadcnt 0xd
	v_dual_mul_f32 v12, v38, v53 :: v_dual_mul_f32 v17, v36, v59
	s_wait_loadcnt 0xc
	v_dual_mul_f32 v18, v35, v59 :: v_dual_mul_f32 v19, v41, v61
	v_mul_f32_e32 v20, v40, v61
	ds_store_2addr_b64 v37, v[13:14], v[0:1] offset0:63 offset1:162
	s_wait_loadcnt 0x8
	v_mul_f32_e32 v0, v26, v67
	v_fmac_f32_e32 v11, v38, v52
	v_mul_f32_e32 v1, v42, v65
	v_fma_f32 v3, v34, v50, -v3
	v_fma_f32 v12, v39, v52, -v12
	v_fmac_f32_e32 v17, v35, v58
	v_fma_f32 v18, v36, v58, -v18
	v_dual_fmac_f32 v19, v40, v60 :: v_dual_fmac_f32 v0, v25, v66
	v_fma_f32 v20, v41, v60, -v20
	v_mul_f32_e32 v21, v43, v65
	ds_store_2addr_b64 v7, v[2:3], v[11:12] offset0:133 offset1:232
	ds_store_2addr_b64 v5, v[17:18], v[19:20] offset0:75 offset1:174
	s_wait_loadcnt 0x6
	v_mul_f32_e32 v2, v47, v70
	v_mul_f32_e32 v3, v46, v70
	s_wait_loadcnt 0x4
	v_mul_f32_e32 v12, v54, v72
	v_mul_f32_e32 v11, v55, v72
	v_fmac_f32_e32 v21, v42, v64
	v_fmac_f32_e32 v2, v46, v69
	v_fma_f32 v3, v47, v69, -v3
	v_fma_f32 v12, v55, v71, -v12
	s_wait_loadcnt 0x2
	v_mul_f32_e32 v14, v56, v74
	v_fma_f32 v22, v43, v64, -v1
	s_wait_loadcnt 0x0
	v_dual_mul_f32 v1, v25, v67 :: v_dual_mul_f32 v18, v62, v76
	v_mul_f32_e32 v13, v57, v74
	v_mul_f32_e32 v17, v63, v76
	v_fmac_f32_e32 v11, v54, v71
	s_delay_alu instid0(VALU_DEP_4)
	v_fma_f32 v1, v26, v66, -v1
	v_fma_f32 v14, v57, v73, -v14
	v_fmac_f32_e32 v13, v56, v73
	v_fmac_f32_e32 v17, v62, v75
	v_fma_f32 v18, v63, v75, -v18
	ds_store_2addr_b64 v68, v[21:22], v[0:1] offset0:17 offset1:116
	ds_store_2addr_b64 v6, v[2:3], v[11:12] offset0:87 offset1:186
	;; [unrolled: 1-line block ×3, first 2 shown]
	ds_store_b64 v239, v[17:18] offset:13080
.LBB0_3:
	s_wait_alu 0xfffe
	s_or_b32 exec_lo, exec_lo, s3
	global_wb scope:SCOPE_SE
	s_wait_storecnt_dscnt 0x0
	s_wait_kmcnt 0x0
	s_barrier_signal -1
	s_barrier_wait -1
	global_inv scope:SCOPE_SE
	ds_load_2addr_b64 v[60:63], v239 offset1:99
	ds_load_2addr_b64 v[52:55], v10 offset0:70 offset1:169
	ds_load_2addr_b64 v[44:47], v8 offset0:140 offset1:239
	ds_load_2addr_b64 v[36:39], v7 offset0:82 offset1:181
	ds_load_2addr_b64 v[32:35], v5 offset0:24 offset1:123
	ds_load_2addr_b64 v[40:43], v4 offset0:94 offset1:193
	ds_load_2addr_b64 v[48:51], v6 offset0:36 offset1:135
	ds_load_2addr_b64 v[56:59], v9 offset0:106 offset1:205
	ds_load_b64 v[66:67], v239 offset:12672
	s_load_b64 s[0:1], s[0:1], 0x8
	v_mov_b32_e32 v0, 0
	v_mov_b32_e32 v1, 0
                                        ; kill: def $vgpr2 killed $sgpr0 killed $exec
                                        ; implicit-def: $vgpr14
                                        ; implicit-def: $vgpr8
                                        ; implicit-def: $vgpr4
                                        ; implicit-def: $vgpr64
                                        ; implicit-def: $vgpr22
                                        ; implicit-def: $vgpr30
                                        ; implicit-def: $vgpr18
                                        ; implicit-def: $vgpr26
	s_and_saveexec_b32 s2, vcc_lo
	s_cbranch_execz .LBB0_5
; %bb.4:
	v_add_nc_u32_e32 v4, 0x400, v239
	v_add_nc_u32_e32 v5, 0xc00, v239
	;; [unrolled: 1-line block ×3, first 2 shown]
	ds_load_2addr_b64 v[0:3], v239 offset0:51 offset1:150
	v_add_nc_u32_e32 v7, 0x2400, v239
	ds_load_2addr_b64 v[24:27], v4 offset0:121 offset1:220
	ds_load_2addr_b64 v[16:19], v5 offset0:63 offset1:162
	v_add_nc_u32_e32 v4, 0x1800, v239
	v_add_nc_u32_e32 v5, 0x2000, v239
	;; [unrolled: 1-line block ×3, first 2 shown]
	ds_load_2addr_b64 v[28:31], v6 offset0:133 offset1:232
	ds_load_2addr_b64 v[20:23], v4 offset0:75 offset1:174
	;; [unrolled: 1-line block ×5, first 2 shown]
	ds_load_b64 v[64:65], v239 offset:13080
.LBB0_5:
	s_wait_alu 0xfffe
	s_or_b32 exec_lo, exec_lo, s2
	s_wait_dscnt 0x8
	v_dual_add_f32 v68, v60, v62 :: v_dual_add_f32 v69, v61, v63
	v_add_co_u32 v241, s2, v236, 51
	s_wait_alu 0xf1ff
	v_add_co_ci_u32_e64 v70, null, 0, 0, s2
	s_wait_dscnt 0x7
	v_dual_add_f32 v68, v68, v52 :: v_dual_add_f32 v69, v69, v53
	s_wait_dscnt 0x0
	v_add_f32_e32 v70, v66, v62
	v_dual_sub_f32 v72, v62, v66 :: v_dual_add_f32 v73, v67, v63
	s_delay_alu instid0(VALU_DEP_3) | instskip(NEXT) | instid1(VALU_DEP_2)
	v_dual_add_f32 v68, v68, v54 :: v_dual_sub_f32 v71, v63, v67
	v_dual_add_f32 v69, v69, v55 :: v_dual_mul_f32 v92, 0xbf4c4adb, v72
	s_delay_alu instid0(VALU_DEP_2) | instskip(NEXT) | instid1(VALU_DEP_2)
	v_dual_sub_f32 v99, v53, v59 :: v_dual_add_f32 v62, v68, v44
	v_dual_mul_f32 v68, 0xbeb8f4ab, v71 :: v_dual_add_f32 v63, v69, v45
	v_mul_f32_e32 v69, 0xbeb8f4ab, v72
	v_dual_mul_f32 v74, 0xbf2c7751, v71 :: v_dual_mul_f32 v75, 0xbf2c7751, v72
	s_delay_alu instid0(VALU_DEP_3) | instskip(NEXT) | instid1(VALU_DEP_4)
	v_dual_add_f32 v62, v62, v46 :: v_dual_add_f32 v63, v63, v47
	v_fma_f32 v81, 0x3f6eb680, v70, -v68
	v_dual_mul_f32 v76, 0xbf65296c, v71 :: v_dual_mul_f32 v77, 0xbf65296c, v72
	s_delay_alu instid0(VALU_DEP_3) | instskip(NEXT) | instid1(VALU_DEP_3)
	v_dual_add_f32 v62, v62, v36 :: v_dual_add_f32 v63, v63, v37
	v_dual_fmamk_f32 v84, v73, 0x3f3d2fb0, v75 :: v_dual_add_f32 v81, v60, v81
	v_fma_f32 v75, 0x3f3d2fb0, v73, -v75
	s_delay_alu instid0(VALU_DEP_3) | instskip(SKIP_3) | instid1(VALU_DEP_4)
	v_dual_add_f32 v62, v62, v38 :: v_dual_add_f32 v63, v63, v39
	v_mul_f32_e32 v80, 0xbf763a35, v71
	v_fma_f32 v85, 0x3ee437d1, v70, -v76
	v_dual_mul_f32 v78, 0xbf7ee86f, v71 :: v_dual_mul_f32 v79, 0xbf7ee86f, v72
	v_dual_add_f32 v63, v63, v33 :: v_dual_fmamk_f32 v82, v73, 0x3f6eb680, v69
	v_fma_f32 v69, 0x3f6eb680, v73, -v69
	v_fma_f32 v83, 0x3f3d2fb0, v70, -v74
	s_delay_alu instid0(VALU_DEP_3) | instskip(SKIP_3) | instid1(VALU_DEP_4)
	v_dual_fmac_f32 v74, 0x3f3d2fb0, v70 :: v_dual_add_f32 v63, v63, v35
	v_fmac_f32_e32 v68, 0x3f6eb680, v70
	v_dual_fmamk_f32 v88, v73, 0x3dbcf732, v79 :: v_dual_add_f32 v85, v60, v85
	v_dual_add_f32 v84, v61, v84 :: v_dual_mul_f32 v89, 0xbf4c4adb, v71
	v_dual_add_f32 v63, v63, v41 :: v_dual_add_f32 v62, v62, v32
	v_dual_add_f32 v69, v61, v69 :: v_dual_add_f32 v74, v60, v74
	s_delay_alu instid0(VALU_DEP_3) | instskip(NEXT) | instid1(VALU_DEP_3)
	v_fma_f32 v91, 0xbf1a4643, v70, -v89
	v_dual_add_f32 v63, v63, v43 :: v_dual_add_f32 v62, v62, v34
	v_fma_f32 v87, 0x3dbcf732, v70, -v78
	v_mul_f32_e32 v102, 0xbf2c7751, v99
	s_delay_alu instid0(VALU_DEP_3) | instskip(NEXT) | instid1(VALU_DEP_4)
	v_dual_add_f32 v82, v61, v82 :: v_dual_add_f32 v63, v63, v49
	v_dual_add_f32 v62, v62, v40 :: v_dual_add_f32 v75, v61, v75
	s_delay_alu instid0(VALU_DEP_4) | instskip(SKIP_1) | instid1(VALU_DEP_3)
	v_dual_add_f32 v87, v60, v87 :: v_dual_fmamk_f32 v86, v73, 0x3ee437d1, v77
	v_add_f32_e32 v83, v60, v83
	v_dual_add_f32 v63, v63, v51 :: v_dual_add_f32 v62, v62, v42
	v_fmac_f32_e32 v76, 0x3ee437d1, v70
	v_fmac_f32_e32 v89, 0xbf1a4643, v70
	v_fma_f32 v77, 0x3ee437d1, v73, -v77
	s_delay_alu instid0(VALU_DEP_4) | instskip(NEXT) | instid1(VALU_DEP_4)
	v_dual_add_f32 v63, v63, v57 :: v_dual_add_f32 v62, v62, v48
	v_add_f32_e32 v76, v60, v76
	s_delay_alu instid0(VALU_DEP_3) | instskip(NEXT) | instid1(VALU_DEP_3)
	v_dual_add_f32 v68, v60, v68 :: v_dual_add_f32 v77, v61, v77
	v_dual_add_f32 v63, v63, v59 :: v_dual_add_f32 v62, v62, v50
	;; [unrolled: 1-line block ×3, first 2 shown]
	v_add_f32_e32 v91, v60, v91
	s_delay_alu instid0(VALU_DEP_3)
	v_dual_add_f32 v63, v63, v67 :: v_dual_add_f32 v62, v62, v56
	v_add_f32_e32 v67, v61, v88
	v_mul_f32_e32 v88, 0xbf763a35, v72
	v_fmamk_f32 v93, v73, 0xbf1a4643, v92
	v_add_f32_e32 v101, v58, v52
	v_add_f32_e32 v62, v62, v58
	v_fmac_f32_e32 v78, 0x3dbcf732, v70
	v_fmamk_f32 v90, v73, 0xbe8c1d8e, v88
	v_fma_f32 v88, 0xbe8c1d8e, v73, -v88
	s_delay_alu instid0(VALU_DEP_4) | instskip(SKIP_1) | instid1(VALU_DEP_4)
	v_dual_mul_f32 v95, 0xbf06c442, v72 :: v_dual_add_f32 v62, v62, v66
	v_fma_f32 v66, 0x3dbcf732, v73, -v79
	v_dual_add_f32 v90, v61, v90 :: v_dual_add_f32 v53, v59, v53
	v_mul_f32_e32 v72, 0xbe3c28d5, v72
	v_sub_f32_e32 v52, v52, v58
	s_delay_alu instid0(VALU_DEP_4)
	v_add_f32_e32 v66, v61, v66
	v_fma_f32 v59, 0x3f3d2fb0, v101, -v102
	v_mul_f32_e32 v94, 0xbf06c442, v71
	v_mul_f32_e32 v71, 0xbe3c28d5, v71
	v_fma_f32 v79, 0xbe8c1d8e, v70, -v80
	v_add_f32_e32 v88, v61, v88
	v_fma_f32 v92, 0xbf1a4643, v73, -v92
	v_dual_add_f32 v93, v61, v93 :: v_dual_add_f32 v78, v60, v78
	v_fmamk_f32 v97, v73, 0xbf59a7d5, v95
	v_fmac_f32_e32 v80, 0xbe8c1d8e, v70
	v_fma_f32 v95, 0xbf59a7d5, v73, -v95
	v_fma_f32 v98, 0xbf7ba420, v70, -v71
	v_dual_fmamk_f32 v100, v73, 0xbf7ba420, v72 :: v_dual_fmac_f32 v71, 0xbf7ba420, v70
	v_fma_f32 v58, 0xbf7ba420, v73, -v72
	v_add_f32_e32 v59, v59, v81
	v_fma_f32 v96, 0xbf59a7d5, v70, -v94
	v_fmac_f32_e32 v94, 0xbf59a7d5, v70
	v_mul_f32_e32 v70, 0xbf2c7751, v52
	v_add_f32_e32 v92, v61, v92
	v_dual_add_f32 v97, v61, v97 :: v_dual_add_f32 v80, v60, v80
	v_dual_add_f32 v95, v61, v95 :: v_dual_add_f32 v96, v60, v96
	v_add_f32_e32 v72, v61, v100
	v_add_f32_e32 v58, v61, v58
	v_fmamk_f32 v61, v53, 0x3f3d2fb0, v70
	v_fma_f32 v70, 0x3f3d2fb0, v53, -v70
	v_add_f32_e32 v79, v60, v79
	v_add_f32_e32 v98, v60, v98
	v_mul_lo_u16 v122, v236, 17
	v_add_f32_e32 v61, v61, v82
	v_dual_add_f32 v69, v70, v69 :: v_dual_add_f32 v94, v60, v94
	v_add_f32_e32 v60, v60, v71
	v_mul_f32_e32 v71, 0xbf7ee86f, v99
	v_mul_f32_e32 v82, 0xbf4c4adb, v99
	v_and_b32_e32 v122, 0xffff, v122
	global_wb scope:SCOPE_SE
	s_wait_kmcnt 0x0
	s_barrier_signal -1
	v_fma_f32 v81, 0x3dbcf732, v101, -v71
	v_fmac_f32_e32 v71, 0x3dbcf732, v101
	v_mul_f32_e32 v73, 0xbf7ee86f, v52
	v_mul_f32_e32 v100, 0xbe3c28d5, v52
	s_barrier_wait -1
	v_add_f32_e32 v81, v81, v83
	v_fma_f32 v83, 0xbf1a4643, v101, -v82
	v_fmamk_f32 v70, v53, 0x3dbcf732, v73
	v_fma_f32 v73, 0x3dbcf732, v53, -v73
	v_dual_add_f32 v71, v71, v74 :: v_dual_mul_f32 v74, 0xbe3c28d5, v99
	v_fmac_f32_e32 v82, 0xbf1a4643, v101
	s_delay_alu instid0(VALU_DEP_4) | instskip(NEXT) | instid1(VALU_DEP_4)
	v_add_f32_e32 v70, v70, v84
	v_dual_mul_f32 v84, 0xbf4c4adb, v52 :: v_dual_add_f32 v73, v73, v75
	v_add_f32_e32 v75, v83, v85
	v_fma_f32 v85, 0xbf7ba420, v101, -v74
	s_delay_alu instid0(VALU_DEP_3) | instskip(SKIP_2) | instid1(VALU_DEP_4)
	v_dual_add_f32 v76, v82, v76 :: v_dual_fmamk_f32 v83, v53, 0xbf1a4643, v84
	v_fma_f32 v84, 0xbf1a4643, v53, -v84
	v_fmac_f32_e32 v74, 0xbf7ba420, v101
	v_dual_add_f32 v82, v85, v87 :: v_dual_mul_f32 v87, 0x3f06c442, v52
	v_mul_f32_e32 v85, 0x3f06c442, v99
	s_delay_alu instid0(VALU_DEP_4) | instskip(SKIP_2) | instid1(VALU_DEP_3)
	v_dual_add_f32 v77, v84, v77 :: v_dual_fmamk_f32 v84, v53, 0xbf7ba420, v100
	v_dual_fmac_f32 v102, 0x3f3d2fb0, v101 :: v_dual_add_f32 v83, v83, v86
	v_fma_f32 v86, 0xbf7ba420, v53, -v100
	v_dual_mul_f32 v100, 0x3f65296c, v52 :: v_dual_add_f32 v67, v84, v67
	s_delay_alu instid0(VALU_DEP_3)
	v_add_f32_e32 v68, v102, v68
	v_fma_f32 v84, 0xbf59a7d5, v101, -v85
	v_add_f32_e32 v74, v74, v78
	v_fmamk_f32 v78, v53, 0xbf59a7d5, v87
	v_fmac_f32_e32 v85, 0xbf59a7d5, v101
	global_inv scope:SCOPE_SE
	v_add_f32_e32 v79, v84, v79
	v_fma_f32 v84, 0xbf59a7d5, v53, -v87
	v_add_f32_e32 v78, v78, v90
	v_mul_f32_e32 v90, 0x3f763a35, v52
	v_dual_add_f32 v80, v85, v80 :: v_dual_mul_f32 v85, 0x3f65296c, v99
	v_add_f32_e32 v66, v86, v66
	v_mul_f32_e32 v86, 0x3f763a35, v99
	v_add_f32_e32 v84, v84, v88
	v_fmamk_f32 v88, v53, 0xbe8c1d8e, v90
	v_fma_f32 v90, 0xbe8c1d8e, v53, -v90
	v_mul_f32_e32 v52, 0x3eb8f4ab, v52
	v_fma_f32 v87, 0xbe8c1d8e, v101, -v86
	v_fmac_f32_e32 v86, 0xbe8c1d8e, v101
	v_add_f32_e32 v88, v88, v93
	v_fma_f32 v93, 0x3ee437d1, v53, -v100
	v_lshlrev_b32_e32 v251, 3, v122
	v_add_f32_e32 v87, v87, v91
	v_fma_f32 v91, 0x3ee437d1, v101, -v85
	v_add_f32_e32 v86, v86, v89
	v_dual_add_f32 v89, v90, v92 :: v_dual_mul_f32 v92, 0x3eb8f4ab, v99
	v_fmac_f32_e32 v85, 0x3ee437d1, v101
	v_add_f32_e32 v93, v93, v95
	v_sub_f32_e32 v103, v20, v22
	s_delay_alu instid0(VALU_DEP_3) | instskip(SKIP_2) | instid1(VALU_DEP_2)
	v_dual_add_f32 v85, v85, v94 :: v_dual_sub_f32 v94, v55, v57
	v_dual_add_f32 v90, v91, v96 :: v_dual_fmamk_f32 v91, v53, 0x3ee437d1, v100
	v_fma_f32 v96, 0x3f6eb680, v101, -v92
	v_add_f32_e32 v91, v91, v97
	v_fmamk_f32 v97, v53, 0x3f6eb680, v52
	s_delay_alu instid0(VALU_DEP_3)
	v_add_f32_e32 v95, v96, v98
	v_fma_f32 v52, 0x3f6eb680, v53, -v52
	v_dual_add_f32 v53, v57, v55 :: v_dual_add_f32 v96, v56, v54
	v_sub_f32_e32 v54, v54, v56
	v_fmac_f32_e32 v92, 0x3f6eb680, v101
	v_mul_f32_e32 v56, 0xbf65296c, v94
	v_add_f32_e32 v52, v52, v58
	s_delay_alu instid0(VALU_DEP_4) | instskip(NEXT) | instid1(VALU_DEP_4)
	v_dual_sub_f32 v98, v30, v12 :: v_dual_mul_f32 v55, 0xbf65296c, v54
	v_add_f32_e32 v60, v92, v60
	s_delay_alu instid0(VALU_DEP_4) | instskip(SKIP_1) | instid1(VALU_DEP_4)
	v_fma_f32 v57, 0x3ee437d1, v96, -v56
	v_fmac_f32_e32 v56, 0x3ee437d1, v96
	v_fmamk_f32 v92, v53, 0x3ee437d1, v55
	v_fma_f32 v55, 0x3ee437d1, v53, -v55
	s_delay_alu instid0(VALU_DEP_4) | instskip(NEXT) | instid1(VALU_DEP_3)
	v_add_f32_e32 v57, v57, v59
	v_dual_add_f32 v61, v92, v61 :: v_dual_mul_f32 v92, 0xbf4c4adb, v54
	s_delay_alu instid0(VALU_DEP_3) | instskip(NEXT) | instid1(VALU_DEP_2)
	v_add_f32_e32 v55, v55, v69
	v_fmamk_f32 v69, v53, 0xbf1a4643, v92
	v_mul_f32_e32 v58, 0xbf4c4adb, v94
	s_delay_alu instid0(VALU_DEP_2) | instskip(NEXT) | instid1(VALU_DEP_2)
	v_add_f32_e32 v69, v69, v70
	v_fma_f32 v59, 0xbf1a4643, v96, -v58
	s_delay_alu instid0(VALU_DEP_1) | instskip(SKIP_2) | instid1(VALU_DEP_3)
	v_dual_fmac_f32 v58, 0xbf1a4643, v96 :: v_dual_add_f32 v59, v59, v81
	v_fma_f32 v81, 0xbf1a4643, v53, -v92
	v_mul_f32_e32 v92, 0x3e3c28d5, v54
	v_add_f32_e32 v58, v58, v71
	s_delay_alu instid0(VALU_DEP_3) | instskip(NEXT) | instid1(VALU_DEP_3)
	v_add_f32_e32 v70, v81, v73
	v_fmamk_f32 v71, v53, 0xbf7ba420, v92
	v_fma_f32 v81, 0xbf7ba420, v53, -v92
	s_delay_alu instid0(VALU_DEP_2) | instskip(SKIP_3) | instid1(VALU_DEP_2)
	v_add_f32_e32 v71, v71, v83
	v_dual_mul_f32 v83, 0x3f763a35, v54 :: v_dual_add_f32 v56, v56, v68
	v_mul_f32_e32 v68, 0x3e3c28d5, v94
	v_add_f32_e32 v72, v97, v72
	v_fma_f32 v97, 0xbf7ba420, v96, -v68
	s_delay_alu instid0(VALU_DEP_1) | instskip(NEXT) | instid1(VALU_DEP_1)
	v_dual_fmac_f32 v68, 0xbf7ba420, v96 :: v_dual_add_f32 v73, v97, v75
	v_dual_mul_f32 v75, 0x3f763a35, v94 :: v_dual_add_f32 v68, v68, v76
	v_dual_add_f32 v76, v81, v77 :: v_dual_mul_f32 v77, 0x3f2c7751, v94
	v_fmamk_f32 v81, v53, 0xbe8c1d8e, v83
	s_delay_alu instid0(VALU_DEP_3) | instskip(SKIP_2) | instid1(VALU_DEP_3)
	v_fma_f32 v92, 0xbe8c1d8e, v96, -v75
	v_fmac_f32_e32 v75, 0xbe8c1d8e, v96
	v_fma_f32 v83, 0xbe8c1d8e, v53, -v83
	v_dual_add_f32 v67, v81, v67 :: v_dual_add_f32 v82, v92, v82
	v_fma_f32 v92, 0x3f3d2fb0, v96, -v77
	s_delay_alu instid0(VALU_DEP_4) | instskip(NEXT) | instid1(VALU_DEP_4)
	v_add_f32_e32 v74, v75, v74
	v_dual_add_f32 v66, v83, v66 :: v_dual_fmac_f32 v77, 0x3f3d2fb0, v96
	s_delay_alu instid0(VALU_DEP_3) | instskip(SKIP_2) | instid1(VALU_DEP_4)
	v_add_f32_e32 v75, v92, v79
	v_mul_f32_e32 v81, 0x3f2c7751, v54
	v_mul_f32_e32 v79, 0xbeb8f4ab, v94
	v_dual_mul_f32 v92, 0xbeb8f4ab, v54 :: v_dual_add_f32 v77, v77, v80
	s_delay_alu instid0(VALU_DEP_3) | instskip(SKIP_1) | instid1(VALU_DEP_4)
	v_fmamk_f32 v83, v53, 0x3f3d2fb0, v81
	v_fma_f32 v81, 0x3f3d2fb0, v53, -v81
	v_fma_f32 v97, 0x3f6eb680, v96, -v79
	s_delay_alu instid0(VALU_DEP_3) | instskip(NEXT) | instid1(VALU_DEP_3)
	v_dual_fmac_f32 v79, 0x3f6eb680, v96 :: v_dual_add_f32 v78, v83, v78
	v_add_f32_e32 v80, v81, v84
	v_fmamk_f32 v81, v53, 0x3f6eb680, v92
	s_delay_alu instid0(VALU_DEP_4) | instskip(SKIP_2) | instid1(VALU_DEP_4)
	v_dual_add_f32 v83, v97, v87 :: v_dual_mul_f32 v84, 0xbf7ee86f, v94
	v_fma_f32 v87, 0x3f6eb680, v53, -v92
	v_add_f32_e32 v79, v79, v86
	v_dual_add_f32 v81, v81, v88 :: v_dual_mul_f32 v88, 0xbf7ee86f, v54
	s_delay_alu instid0(VALU_DEP_4) | instskip(NEXT) | instid1(VALU_DEP_4)
	v_fma_f32 v92, 0x3dbcf732, v96, -v84
	v_dual_add_f32 v86, v87, v89 :: v_dual_mul_f32 v87, 0xbf06c442, v94
	v_fmac_f32_e32 v84, 0x3dbcf732, v96
	s_delay_alu instid0(VALU_DEP_4) | instskip(SKIP_2) | instid1(VALU_DEP_3)
	v_fmamk_f32 v89, v53, 0x3dbcf732, v88
	v_fma_f32 v88, 0x3dbcf732, v53, -v88
	v_mul_f32_e32 v54, 0xbf06c442, v54
	v_dual_sub_f32 v94, v16, v10 :: v_dual_add_f32 v89, v89, v91
	v_sub_f32_e32 v91, v45, v51
	v_dual_add_f32 v45, v51, v45 :: v_dual_add_f32 v90, v92, v90
	v_fma_f32 v92, 0xbf59a7d5, v96, -v87
	v_fmac_f32_e32 v87, 0xbf59a7d5, v96
	s_delay_alu instid0(VALU_DEP_1)
	v_dual_add_f32 v60, v87, v60 :: v_dual_mul_f32 v87, 0xbe3c28d5, v91
	v_add_f32_e32 v84, v84, v85
	v_add_f32_e32 v85, v88, v93
	v_dual_sub_f32 v93, v44, v50 :: v_dual_add_f32 v44, v50, v44
	v_add_f32_e32 v88, v92, v95
	v_fmamk_f32 v92, v53, 0xbf59a7d5, v54
	v_fma_f32 v53, 0xbf59a7d5, v53, -v54
	s_delay_alu instid0(VALU_DEP_4) | instskip(NEXT) | instid1(VALU_DEP_2)
	v_dual_mul_f32 v51, 0xbf7ee86f, v93 :: v_dual_mul_f32 v50, 0xbf7ee86f, v91
	v_dual_sub_f32 v95, v28, v14 :: v_dual_add_f32 v52, v53, v52
	s_delay_alu instid0(VALU_DEP_2) | instskip(SKIP_1) | instid1(VALU_DEP_2)
	v_fmamk_f32 v53, v45, 0x3dbcf732, v51
	v_fma_f32 v51, 0x3dbcf732, v45, -v51
	v_add_f32_e32 v53, v53, v61
	v_fma_f32 v61, 0xbf7ba420, v44, -v87
	v_fmac_f32_e32 v87, 0xbf7ba420, v44
	s_delay_alu instid0(VALU_DEP_4) | instskip(NEXT) | instid1(VALU_DEP_2)
	v_add_f32_e32 v51, v51, v55
	v_dual_mul_f32 v55, 0x3f763a35, v91 :: v_dual_add_f32 v58, v87, v58
	v_dual_mul_f32 v87, 0x3eb8f4ab, v93 :: v_dual_add_f32 v54, v92, v72
	v_fma_f32 v72, 0x3dbcf732, v44, -v50
	s_delay_alu instid0(VALU_DEP_1) | instskip(SKIP_1) | instid1(VALU_DEP_2)
	v_dual_fmac_f32 v50, 0x3dbcf732, v44 :: v_dual_add_f32 v57, v72, v57
	v_mul_f32_e32 v72, 0xbe3c28d5, v93
	v_add_f32_e32 v50, v50, v56
	v_add_f32_e32 v56, v61, v59
	s_delay_alu instid0(VALU_DEP_3)
	v_fmamk_f32 v59, v45, 0xbf7ba420, v72
	v_fma_f32 v61, 0xbf7ba420, v45, -v72
	v_fma_f32 v72, 0xbe8c1d8e, v44, -v55
	v_mul_f32_e32 v92, 0x3f763a35, v93
	v_fmac_f32_e32 v55, 0xbe8c1d8e, v44
	v_add_f32_e32 v59, v59, v69
	v_add_f32_e32 v61, v61, v70
	s_delay_alu instid0(VALU_DEP_4) | instskip(SKIP_3) | instid1(VALU_DEP_4)
	v_dual_add_f32 v69, v72, v73 :: v_dual_fmamk_f32 v70, v45, 0xbe8c1d8e, v92
	v_mul_f32_e32 v72, 0x3eb8f4ab, v91
	v_fma_f32 v73, 0xbe8c1d8e, v45, -v92
	v_dual_add_f32 v55, v55, v68 :: v_dual_mul_f32 v92, 0xbf06c442, v93
	v_add_f32_e32 v70, v70, v71
	s_delay_alu instid0(VALU_DEP_4) | instskip(NEXT) | instid1(VALU_DEP_4)
	v_fma_f32 v71, 0x3f6eb680, v44, -v72
	v_add_f32_e32 v68, v73, v76
	v_fmamk_f32 v73, v45, 0x3f6eb680, v87
	v_mul_f32_e32 v76, 0xbf65296c, v91
	s_delay_alu instid0(VALU_DEP_4) | instskip(SKIP_1) | instid1(VALU_DEP_4)
	v_dual_fmac_f32 v72, 0x3f6eb680, v44 :: v_dual_add_f32 v71, v71, v82
	v_fma_f32 v82, 0x3f6eb680, v45, -v87
	v_add_f32_e32 v67, v73, v67
	s_delay_alu instid0(VALU_DEP_4) | instskip(NEXT) | instid1(VALU_DEP_4)
	v_fma_f32 v73, 0x3ee437d1, v44, -v76
	v_dual_mul_f32 v87, 0xbf65296c, v93 :: v_dual_add_f32 v72, v72, v74
	v_mul_f32_e32 v74, 0xbf06c442, v91
	s_delay_alu instid0(VALU_DEP_3) | instskip(NEXT) | instid1(VALU_DEP_3)
	v_dual_add_f32 v66, v82, v66 :: v_dual_add_f32 v73, v73, v75
	v_fmamk_f32 v75, v45, 0x3ee437d1, v87
	v_fma_f32 v82, 0x3ee437d1, v45, -v87
	s_delay_alu instid0(VALU_DEP_4) | instskip(NEXT) | instid1(VALU_DEP_3)
	v_fma_f32 v87, 0xbf59a7d5, v44, -v74
	v_dual_fmac_f32 v74, 0xbf59a7d5, v44 :: v_dual_add_f32 v75, v75, v78
	s_delay_alu instid0(VALU_DEP_2) | instskip(SKIP_1) | instid1(VALU_DEP_2)
	v_dual_add_f32 v78, v87, v83 :: v_dual_mul_f32 v83, 0x3f4c4adb, v93
	v_fma_f32 v87, 0xbf59a7d5, v45, -v92
	v_dual_add_f32 v74, v74, v79 :: v_dual_fmamk_f32 v79, v45, 0xbf1a4643, v83
	s_delay_alu instid0(VALU_DEP_2) | instskip(SKIP_1) | instid1(VALU_DEP_3)
	v_dual_add_f32 v86, v87, v86 :: v_dual_mul_f32 v87, 0x3f2c7751, v91
	v_fma_f32 v83, 0xbf1a4643, v45, -v83
	v_add_f32_e32 v79, v79, v89
	s_delay_alu instid0(VALU_DEP_3) | instskip(NEXT) | instid1(VALU_DEP_3)
	v_fma_f32 v89, 0x3f3d2fb0, v44, -v87
	v_add_f32_e32 v83, v83, v85
	v_fmac_f32_e32 v87, 0x3f3d2fb0, v44
	s_delay_alu instid0(VALU_DEP_3) | instskip(SKIP_2) | instid1(VALU_DEP_2)
	v_add_f32_e32 v85, v89, v88
	v_dual_fmac_f32 v76, 0x3ee437d1, v44 :: v_dual_add_f32 v89, v48, v46
	v_sub_f32_e32 v46, v46, v48
	v_dual_add_f32 v76, v76, v77 :: v_dual_add_f32 v77, v82, v80
	v_fmamk_f32 v80, v45, 0xbf59a7d5, v92
	v_mul_f32_e32 v82, 0x3f4c4adb, v91
	s_delay_alu instid0(VALU_DEP_4) | instskip(SKIP_1) | instid1(VALU_DEP_4)
	v_mul_f32_e32 v48, 0xbf763a35, v46
	v_sub_f32_e32 v92, v26, v4
	v_add_f32_e32 v80, v80, v81
	s_delay_alu instid0(VALU_DEP_4) | instskip(NEXT) | instid1(VALU_DEP_1)
	v_fma_f32 v81, 0xbf1a4643, v44, -v82
	v_dual_fmac_f32 v82, 0xbf1a4643, v44 :: v_dual_add_f32 v81, v81, v90
	v_mul_f32_e32 v90, 0x3f2c7751, v93
	s_delay_alu instid0(VALU_DEP_2) | instskip(NEXT) | instid1(VALU_DEP_2)
	v_add_f32_e32 v82, v82, v84
	v_dual_sub_f32 v93, v18, v8 :: v_dual_fmamk_f32 v88, v45, 0x3f3d2fb0, v90
	v_fma_f32 v44, 0x3f3d2fb0, v45, -v90
	v_dual_add_f32 v45, v49, v47 :: v_dual_sub_f32 v84, v47, v49
	s_delay_alu instid0(VALU_DEP_3) | instskip(SKIP_1) | instid1(VALU_DEP_4)
	v_dual_sub_f32 v90, v29, v15 :: v_dual_add_f32 v49, v88, v54
	v_add_f32_e32 v54, v87, v60
	v_add_f32_e32 v44, v44, v52
	s_delay_alu instid0(VALU_DEP_4)
	v_mul_f32_e32 v91, 0xbf763a35, v84
	v_fmamk_f32 v52, v45, 0xbe8c1d8e, v48
	v_fma_f32 v48, 0xbe8c1d8e, v45, -v48
	v_mul_f32_e32 v60, 0x3f06c442, v46
	v_mul_f32_e32 v87, 0x3f2c7751, v84
	v_fma_f32 v47, 0xbe8c1d8e, v89, -v91
	s_delay_alu instid0(VALU_DEP_4) | instskip(NEXT) | instid1(VALU_DEP_4)
	v_dual_fmac_f32 v91, 0xbe8c1d8e, v89 :: v_dual_add_f32 v48, v48, v51
	v_fmamk_f32 v51, v45, 0xbf59a7d5, v60
	s_delay_alu instid0(VALU_DEP_3) | instskip(SKIP_1) | instid1(VALU_DEP_3)
	v_add_f32_e32 v47, v47, v57
	v_mul_f32_e32 v57, 0x3f06c442, v84
	v_add_f32_e32 v51, v51, v59
	v_fma_f32 v59, 0x3f3d2fb0, v89, -v87
	v_fmac_f32_e32 v87, 0x3f3d2fb0, v89
	s_delay_alu instid0(VALU_DEP_2) | instskip(NEXT) | instid1(VALU_DEP_2)
	v_add_f32_e32 v59, v59, v69
	v_dual_add_f32 v55, v87, v55 :: v_dual_add_f32 v52, v52, v53
	v_fma_f32 v53, 0xbf59a7d5, v89, -v57
	v_fmac_f32_e32 v57, 0xbf59a7d5, v89
	v_mul_f32_e32 v88, 0xbf65296c, v46
	v_mul_f32_e32 v87, 0xbe3c28d5, v46
	s_delay_alu instid0(VALU_DEP_4) | instskip(SKIP_3) | instid1(VALU_DEP_2)
	v_add_f32_e32 v53, v53, v56
	v_fma_f32 v56, 0xbf59a7d5, v45, -v60
	v_mul_f32_e32 v60, 0x3f2c7751, v46
	v_dual_add_f32 v57, v57, v58 :: v_dual_mul_f32 v58, 0xbf65296c, v84
	v_dual_add_f32 v56, v56, v61 :: v_dual_fmamk_f32 v61, v45, 0x3f3d2fb0, v60
	v_fma_f32 v60, 0x3f3d2fb0, v45, -v60
	s_delay_alu instid0(VALU_DEP_3) | instskip(NEXT) | instid1(VALU_DEP_2)
	v_fma_f32 v69, 0x3ee437d1, v89, -v58
	v_dual_add_f32 v61, v61, v70 :: v_dual_add_f32 v60, v60, v68
	s_delay_alu instid0(VALU_DEP_2) | instskip(SKIP_3) | instid1(VALU_DEP_3)
	v_add_f32_e32 v68, v69, v71
	v_fmamk_f32 v69, v45, 0x3ee437d1, v88
	v_mul_f32_e32 v70, 0xbe3c28d5, v84
	v_fma_f32 v71, 0x3ee437d1, v45, -v88
	v_dual_mul_f32 v88, 0xbeb8f4ab, v46 :: v_dual_add_f32 v67, v69, v67
	s_delay_alu instid0(VALU_DEP_3) | instskip(NEXT) | instid1(VALU_DEP_3)
	v_fma_f32 v69, 0xbf7ba420, v89, -v70
	v_dual_add_f32 v66, v71, v66 :: v_dual_fmamk_f32 v71, v45, 0xbf7ba420, v87
	s_delay_alu instid0(VALU_DEP_2) | instskip(SKIP_4) | instid1(VALU_DEP_4)
	v_add_f32_e32 v69, v69, v73
	v_fma_f32 v73, 0xbf7ba420, v45, -v87
	v_mul_f32_e32 v87, 0x3f7ee86f, v46
	v_add_f32_e32 v50, v91, v50
	v_dual_add_f32 v71, v71, v75 :: v_dual_mul_f32 v46, 0xbf4c4adb, v46
	v_add_f32_e32 v73, v73, v77
	s_delay_alu instid0(VALU_DEP_4) | instskip(SKIP_1) | instid1(VALU_DEP_2)
	v_fmamk_f32 v77, v45, 0x3dbcf732, v87
	v_dual_fmac_f32 v70, 0xbf7ba420, v89 :: v_dual_sub_f32 v91, v24, v6
	v_add_f32_e32 v77, v77, v80
	s_delay_alu instid0(VALU_DEP_2) | instskip(SKIP_1) | instid1(VALU_DEP_1)
	v_add_f32_e32 v70, v70, v76
	v_fmamk_f32 v80, v45, 0x3f6eb680, v88
	v_dual_mul_f32 v76, 0xbeb8f4ab, v84 :: v_dual_add_f32 v79, v80, v79
	v_fmac_f32_e32 v58, 0x3ee437d1, v89
	s_delay_alu instid0(VALU_DEP_1) | instskip(SKIP_1) | instid1(VALU_DEP_1)
	v_add_f32_e32 v58, v58, v72
	v_mul_f32_e32 v72, 0x3f7ee86f, v84
	v_fma_f32 v75, 0x3dbcf732, v89, -v72
	s_delay_alu instid0(VALU_DEP_1) | instskip(SKIP_2) | instid1(VALU_DEP_3)
	v_dual_fmac_f32 v72, 0x3dbcf732, v89 :: v_dual_add_f32 v75, v75, v78
	v_fma_f32 v78, 0x3dbcf732, v45, -v87
	v_fma_f32 v87, 0x3f6eb680, v89, -v76
	v_add_f32_e32 v72, v72, v74
	v_fmac_f32_e32 v76, 0x3f6eb680, v89
	s_delay_alu instid0(VALU_DEP_4) | instskip(NEXT) | instid1(VALU_DEP_4)
	v_add_f32_e32 v74, v78, v86
	v_dual_add_f32 v78, v87, v81 :: v_dual_mul_f32 v81, 0xbf4c4adb, v84
	v_fma_f32 v84, 0x3f6eb680, v45, -v88
	s_delay_alu instid0(VALU_DEP_4)
	v_add_f32_e32 v76, v76, v82
	v_fmamk_f32 v86, v45, 0xbf1a4643, v46
	v_fma_f32 v45, 0xbf1a4643, v45, -v46
	v_fma_f32 v80, 0xbf1a4643, v89, -v81
	v_add_f32_e32 v82, v84, v83
	v_sub_f32_e32 v83, v37, v43
	v_dual_fmac_f32 v81, 0xbf1a4643, v89 :: v_dual_add_f32 v84, v42, v36
	v_dual_sub_f32 v36, v36, v42 :: v_dual_add_f32 v37, v43, v37
	s_delay_alu instid0(VALU_DEP_3) | instskip(SKIP_1) | instid1(VALU_DEP_3)
	v_mul_f32_e32 v42, 0xbf4c4adb, v83
	v_dual_add_f32 v44, v45, v44 :: v_dual_mul_f32 v45, 0x3f763a35, v83
	v_dual_mul_f32 v43, 0xbf4c4adb, v36 :: v_dual_add_f32 v54, v81, v54
	s_delay_alu instid0(VALU_DEP_3) | instskip(SKIP_1) | instid1(VALU_DEP_3)
	v_fma_f32 v46, 0xbf1a4643, v84, -v42
	v_fmac_f32_e32 v42, 0xbf1a4643, v84
	v_dual_add_f32 v80, v80, v85 :: v_dual_fmamk_f32 v81, v37, 0xbf1a4643, v43
	v_fma_f32 v43, 0xbf1a4643, v37, -v43
	s_delay_alu instid0(VALU_DEP_4)
	v_add_f32_e32 v46, v46, v47
	v_fma_f32 v47, 0xbe8c1d8e, v84, -v45
	v_fmac_f32_e32 v45, 0xbe8c1d8e, v84
	v_add_f32_e32 v52, v81, v52
	v_mul_f32_e32 v81, 0x3f763a35, v36
	v_dual_add_f32 v43, v43, v48 :: v_dual_add_f32 v42, v42, v50
	s_delay_alu instid0(VALU_DEP_4)
	v_add_f32_e32 v45, v45, v57
	v_mul_f32_e32 v57, 0xbf06c442, v83
	v_dual_mul_f32 v48, 0xbeb8f4ab, v83 :: v_dual_add_f32 v47, v47, v53
	v_fmamk_f32 v50, v37, 0xbe8c1d8e, v81
	v_fma_f32 v53, 0xbe8c1d8e, v37, -v81
	v_mul_f32_e32 v81, 0xbeb8f4ab, v36
	s_delay_alu instid0(VALU_DEP_4) | instskip(SKIP_1) | instid1(VALU_DEP_4)
	v_fma_f32 v85, 0x3f6eb680, v84, -v48
	v_add_f32_e32 v49, v86, v49
	v_dual_add_f32 v50, v50, v51 :: v_dual_add_f32 v51, v53, v56
	s_delay_alu instid0(VALU_DEP_4) | instskip(NEXT) | instid1(VALU_DEP_4)
	v_fmamk_f32 v53, v37, 0x3f6eb680, v81
	v_add_f32_e32 v56, v85, v59
	v_fma_f32 v59, 0x3f6eb680, v37, -v81
	v_fma_f32 v81, 0xbf59a7d5, v84, -v57
	v_fmac_f32_e32 v57, 0xbf59a7d5, v84
	v_add_f32_e32 v53, v53, v61
	v_dual_mul_f32 v61, 0xbf06c442, v36 :: v_dual_sub_f32 v86, v25, v7
	s_delay_alu instid0(VALU_DEP_4) | instskip(NEXT) | instid1(VALU_DEP_4)
	v_add_f32_e32 v68, v81, v68
	v_dual_add_f32 v57, v57, v58 :: v_dual_fmac_f32 v48, 0x3f6eb680, v84
	v_dual_sub_f32 v88, v17, v11 :: v_dual_sub_f32 v89, v19, v9
	s_delay_alu instid0(VALU_DEP_2) | instskip(SKIP_4) | instid1(VALU_DEP_3)
	v_dual_sub_f32 v87, v27, v5 :: v_dual_add_f32 v48, v48, v55
	v_add_f32_e32 v55, v59, v60
	v_mul_f32_e32 v59, 0x3f7ee86f, v83
	v_fmamk_f32 v60, v37, 0xbf59a7d5, v61
	v_fma_f32 v61, 0xbf59a7d5, v37, -v61
	v_fma_f32 v81, 0x3dbcf732, v84, -v59
	s_delay_alu instid0(VALU_DEP_3) | instskip(NEXT) | instid1(VALU_DEP_3)
	v_dual_add_f32 v60, v60, v67 :: v_dual_mul_f32 v67, 0x3f7ee86f, v36
	v_add_f32_e32 v58, v61, v66
	s_delay_alu instid0(VALU_DEP_3) | instskip(SKIP_1) | instid1(VALU_DEP_4)
	v_dual_mul_f32 v66, 0xbf2c7751, v83 :: v_dual_add_f32 v61, v81, v69
	v_fmac_f32_e32 v59, 0x3dbcf732, v84
	v_fmamk_f32 v69, v37, 0x3dbcf732, v67
	v_fma_f32 v67, 0x3dbcf732, v37, -v67
	v_mul_f32_e32 v81, 0xbf2c7751, v36
	v_fma_f32 v85, 0x3f3d2fb0, v84, -v66
	v_add_f32_e32 v59, v59, v70
	v_add_f32_e32 v69, v69, v71
	s_delay_alu instid0(VALU_DEP_4) | instskip(NEXT) | instid1(VALU_DEP_4)
	v_dual_add_f32 v67, v67, v73 :: v_dual_fmamk_f32 v70, v37, 0x3f3d2fb0, v81
	v_add_f32_e32 v71, v85, v75
	v_mul_f32_e32 v73, 0xbe3c28d5, v83
	v_fmac_f32_e32 v66, 0x3f3d2fb0, v84
	v_fma_f32 v75, 0x3f3d2fb0, v37, -v81
	v_dual_add_f32 v70, v70, v77 :: v_dual_mul_f32 v77, 0xbe3c28d5, v36
	s_delay_alu instid0(VALU_DEP_4) | instskip(NEXT) | instid1(VALU_DEP_4)
	v_fma_f32 v81, 0xbf7ba420, v84, -v73
	v_add_f32_e32 v66, v66, v72
	s_delay_alu instid0(VALU_DEP_4) | instskip(SKIP_4) | instid1(VALU_DEP_4)
	v_add_f32_e32 v72, v75, v74
	v_mul_f32_e32 v74, 0x3f65296c, v83
	v_fmamk_f32 v75, v37, 0xbf7ba420, v77
	v_dual_add_f32 v78, v81, v78 :: v_dual_fmac_f32 v73, 0xbf7ba420, v84
	v_fma_f32 v77, 0xbf7ba420, v37, -v77
	v_fma_f32 v81, 0x3ee437d1, v84, -v74
	s_delay_alu instid0(VALU_DEP_4) | instskip(NEXT) | instid1(VALU_DEP_4)
	v_dual_mul_f32 v36, 0x3f65296c, v36 :: v_dual_add_f32 v75, v75, v79
	v_add_f32_e32 v73, v73, v76
	s_delay_alu instid0(VALU_DEP_4) | instskip(NEXT) | instid1(VALU_DEP_4)
	v_add_f32_e32 v76, v77, v82
	v_add_f32_e32 v77, v81, v80
	s_delay_alu instid0(VALU_DEP_4) | instskip(SKIP_3) | instid1(VALU_DEP_4)
	v_dual_sub_f32 v79, v39, v41 :: v_dual_fmamk_f32 v80, v37, 0x3ee437d1, v36
	v_sub_f32_e32 v81, v38, v40
	v_fma_f32 v36, 0x3ee437d1, v37, -v36
	v_dual_fmac_f32 v74, 0x3ee437d1, v84 :: v_dual_add_f32 v37, v41, v39
	v_add_f32_e32 v41, v80, v49
	s_delay_alu instid0(VALU_DEP_3)
	v_dual_mul_f32 v39, 0xbf06c442, v81 :: v_dual_add_f32 v36, v36, v44
	v_mul_f32_e32 v80, 0xbf7ee86f, v81
	v_add_f32_e32 v38, v40, v38
	v_mul_f32_e32 v40, 0xbf06c442, v79
	v_add_f32_e32 v54, v74, v54
	v_fmamk_f32 v44, v37, 0xbf59a7d5, v39
	v_mul_f32_e32 v74, 0x3f65296c, v79
	v_fma_f32 v39, 0xbf59a7d5, v37, -v39
	v_fma_f32 v49, 0xbf59a7d5, v38, -v40
	s_delay_alu instid0(VALU_DEP_4) | instskip(NEXT) | instid1(VALU_DEP_3)
	v_dual_sub_f32 v85, v21, v23 :: v_dual_add_f32 v44, v44, v52
	v_dual_mul_f32 v52, 0x3f65296c, v81 :: v_dual_add_f32 v39, v39, v43
	s_delay_alu instid0(VALU_DEP_3) | instskip(SKIP_2) | instid1(VALU_DEP_2)
	v_add_f32_e32 v46, v49, v46
	v_fma_f32 v49, 0x3ee437d1, v38, -v74
	v_dual_mul_f32 v83, 0xbe3c28d5, v103 :: v_dual_sub_f32 v84, v31, v13
	v_dual_mul_f32 v82, 0xbf06c442, v98 :: v_dual_add_f32 v43, v49, v47
	v_fma_f32 v49, 0x3ee437d1, v37, -v52
	v_fmamk_f32 v47, v37, 0x3ee437d1, v52
	s_delay_alu instid0(VALU_DEP_2) | instskip(SKIP_4) | instid1(VALU_DEP_3)
	v_add_f32_e32 v49, v49, v51
	v_fmamk_f32 v51, v37, 0x3dbcf732, v80
	v_fmac_f32_e32 v40, 0xbf59a7d5, v38
	v_fmac_f32_e32 v74, 0x3ee437d1, v38
	v_add_f32_e32 v47, v47, v50
	v_dual_add_f32 v51, v51, v53 :: v_dual_add_f32 v40, v40, v42
	s_delay_alu instid0(VALU_DEP_3) | instskip(SKIP_1) | instid1(VALU_DEP_2)
	v_dual_mul_f32 v42, 0xbf7ee86f, v79 :: v_dual_add_f32 v45, v74, v45
	v_mul_f32_e32 v74, 0x3f4c4adb, v81
	v_fma_f32 v52, 0x3dbcf732, v38, -v42
	v_fmac_f32_e32 v42, 0x3dbcf732, v38
	s_delay_alu instid0(VALU_DEP_2) | instskip(SKIP_2) | instid1(VALU_DEP_4)
	v_add_f32_e32 v50, v52, v56
	v_mul_f32_e32 v52, 0x3f4c4adb, v79
	v_fma_f32 v56, 0x3dbcf732, v37, -v80
	v_add_f32_e32 v42, v42, v48
	s_delay_alu instid0(VALU_DEP_3) | instskip(NEXT) | instid1(VALU_DEP_3)
	v_fma_f32 v53, 0xbf1a4643, v38, -v52
	v_dual_add_f32 v48, v56, v55 :: v_dual_fmamk_f32 v55, v37, 0xbf1a4643, v74
	v_mul_f32_e32 v56, 0xbeb8f4ab, v79
	s_delay_alu instid0(VALU_DEP_3) | instskip(SKIP_1) | instid1(VALU_DEP_4)
	v_dual_fmac_f32 v52, 0xbf1a4643, v38 :: v_dual_add_f32 v53, v53, v68
	v_fma_f32 v68, 0xbf1a4643, v37, -v74
	v_add_f32_e32 v55, v55, v60
	s_delay_alu instid0(VALU_DEP_4) | instskip(SKIP_3) | instid1(VALU_DEP_3)
	v_fma_f32 v60, 0x3f6eb680, v38, -v56
	v_mul_f32_e32 v74, 0xbeb8f4ab, v81
	v_add_f32_e32 v52, v52, v57
	v_dual_add_f32 v57, v68, v58 :: v_dual_mul_f32 v58, 0xbe3c28d5, v79
	v_dual_add_f32 v60, v60, v61 :: v_dual_fmamk_f32 v61, v37, 0x3f6eb680, v74
	v_fmac_f32_e32 v56, 0x3f6eb680, v38
	v_fma_f32 v68, 0x3f6eb680, v37, -v74
	v_mul_f32_e32 v80, 0xbe3c28d5, v81
	v_fma_f32 v74, 0xbf7ba420, v38, -v58
	s_delay_alu instid0(VALU_DEP_4) | instskip(NEXT) | instid1(VALU_DEP_3)
	v_dual_add_f32 v61, v61, v69 :: v_dual_add_f32 v56, v56, v59
	v_dual_add_f32 v59, v68, v67 :: v_dual_fmamk_f32 v68, v37, 0xbf7ba420, v80
	v_mul_f32_e32 v69, 0x3f2c7751, v79
	s_delay_alu instid0(VALU_DEP_4)
	v_add_f32_e32 v67, v74, v71
	v_mul_f32_e32 v71, 0x3f2c7751, v81
	v_fma_f32 v74, 0xbf7ba420, v37, -v80
	v_sub_f32_e32 v80, v32, v34
	v_add_f32_e32 v68, v68, v70
	v_fmac_f32_e32 v58, 0xbf7ba420, v38
	v_fma_f32 v70, 0x3f3d2fb0, v38, -v69
	v_fmac_f32_e32 v69, 0x3f3d2fb0, v38
	s_delay_alu instid0(VALU_DEP_3) | instskip(SKIP_1) | instid1(VALU_DEP_3)
	v_add_f32_e32 v58, v58, v66
	v_fmamk_f32 v66, v37, 0x3f3d2fb0, v71
	v_add_f32_e32 v69, v69, v73
	v_dual_sub_f32 v73, v33, v35 :: v_dual_add_f32 v72, v74, v72
	v_mul_f32_e32 v74, 0xbf763a35, v79
	s_delay_alu instid0(VALU_DEP_4)
	v_add_f32_e32 v66, v66, v75
	v_add_f32_e32 v70, v70, v78
	v_fma_f32 v71, 0x3f3d2fb0, v37, -v71
	v_mul_f32_e32 v78, 0xbf763a35, v81
	v_fma_f32 v75, 0xbe8c1d8e, v38, -v74
	v_mul_f32_e32 v79, 0xbe3c28d5, v73
	s_delay_alu instid0(VALU_DEP_4) | instskip(NEXT) | instid1(VALU_DEP_3)
	v_dual_mul_f32 v116, 0x3f7ee86f, v73 :: v_dual_add_f32 v71, v71, v76
	v_dual_fmamk_f32 v76, v37, 0xbe8c1d8e, v78 :: v_dual_add_f32 v75, v75, v77
	v_add_f32_e32 v77, v34, v32
	v_fma_f32 v32, 0xbe8c1d8e, v37, -v78
	v_add_f32_e32 v78, v35, v33
	v_mul_f32_e32 v34, 0xbe3c28d5, v80
	v_add_f32_e32 v76, v76, v41
	v_fma_f32 v33, 0xbf7ba420, v77, -v79
	v_dual_fmac_f32 v74, 0xbe8c1d8e, v38 :: v_dual_add_f32 v115, v32, v36
	v_mul_f32_e32 v38, 0x3eb8f4ab, v73
	s_delay_alu instid0(VALU_DEP_3)
	v_dual_fmac_f32 v79, 0xbf7ba420, v77 :: v_dual_add_f32 v32, v33, v46
	v_fmamk_f32 v33, v78, 0xbf7ba420, v34
	v_fma_f32 v35, 0xbf7ba420, v78, -v34
	v_mul_f32_e32 v37, 0x3eb8f4ab, v80
	v_fma_f32 v36, 0x3f6eb680, v77, -v38
	v_add_f32_e32 v34, v79, v40
	v_dual_add_f32 v33, v33, v44 :: v_dual_mul_f32 v44, 0xbf06c442, v73
	v_add_f32_e32 v35, v35, v39
	s_delay_alu instid0(VALU_DEP_4) | instskip(SKIP_1) | instid1(VALU_DEP_4)
	v_dual_fmamk_f32 v39, v78, 0x3f6eb680, v37 :: v_dual_add_f32 v36, v36, v43
	v_fma_f32 v40, 0x3f6eb680, v78, -v37
	v_fma_f32 v41, 0xbf59a7d5, v77, -v44
	v_mul_f32_e32 v43, 0xbf06c442, v80
	s_delay_alu instid0(VALU_DEP_4) | instskip(NEXT) | instid1(VALU_DEP_4)
	v_dual_fmac_f32 v38, 0x3f6eb680, v77 :: v_dual_add_f32 v37, v39, v47
	v_add_f32_e32 v39, v40, v49
	v_mul_f32_e32 v46, 0x3f2c7751, v73
	s_delay_alu instid0(VALU_DEP_4)
	v_dual_add_f32 v40, v41, v50 :: v_dual_fmamk_f32 v41, v78, 0xbf59a7d5, v43
	v_fma_f32 v43, 0xbf59a7d5, v78, -v43
	v_dual_add_f32 v38, v38, v45 :: v_dual_mul_f32 v81, 0xbf2c7751, v91
	v_fmac_f32_e32 v44, 0xbf59a7d5, v77
	v_fma_f32 v45, 0x3f3d2fb0, v77, -v46
	v_mul_f32_e32 v47, 0x3f2c7751, v80
	v_dual_add_f32 v43, v43, v48 :: v_dual_mul_f32 v48, 0xbf4c4adb, v73
	s_delay_alu instid0(VALU_DEP_4) | instskip(NEXT) | instid1(VALU_DEP_3)
	v_add_f32_e32 v42, v44, v42
	v_dual_add_f32 v44, v45, v53 :: v_dual_fmamk_f32 v45, v78, 0x3f3d2fb0, v47
	v_fmac_f32_e32 v46, 0x3f3d2fb0, v77
	v_fma_f32 v47, 0x3f3d2fb0, v78, -v47
	v_mul_f32_e32 v49, 0xbf4c4adb, v80
	v_fma_f32 v50, 0xbf1a4643, v77, -v48
	v_fmac_f32_e32 v48, 0xbf1a4643, v77
	s_delay_alu instid0(VALU_DEP_4) | instskip(NEXT) | instid1(VALU_DEP_4)
	v_dual_add_f32 v96, v46, v52 :: v_dual_add_f32 v97, v47, v57
	v_fmamk_f32 v46, v78, 0xbf1a4643, v49
	v_mul_f32_e32 v47, 0x3f65296c, v73
	v_add_f32_e32 v99, v50, v60
	v_fma_f32 v49, 0xbf1a4643, v78, -v49
	v_mul_f32_e32 v50, 0x3f65296c, v80
	v_add_f32_e32 v100, v46, v61
	v_fma_f32 v46, 0x3ee437d1, v77, -v47
	v_add_f32_e32 v41, v41, v51
	v_add_f32_e32 v102, v49, v59
	v_fma_f32 v49, 0x3ee437d1, v78, -v50
	v_dual_add_f32 v101, v48, v56 :: v_dual_mul_f32 v48, 0xbf763a35, v73
	v_dual_add_f32 v104, v46, v67 :: v_dual_fmac_f32 v47, 0x3ee437d1, v77
	v_mul_f32_e32 v51, 0xbf763a35, v80
	s_delay_alu instid0(VALU_DEP_4)
	v_add_f32_e32 v107, v49, v72
	v_mul_f32_e32 v49, 0x3f7ee86f, v80
	v_fmamk_f32 v46, v78, 0x3ee437d1, v50
	v_fma_f32 v50, 0xbe8c1d8e, v77, -v48
	v_add_f32_e32 v106, v47, v58
	v_fmac_f32_e32 v48, 0xbe8c1d8e, v77
	v_fma_f32 v47, 0xbe8c1d8e, v78, -v51
	v_add_f32_e32 v105, v46, v68
	v_fmamk_f32 v46, v78, 0xbe8c1d8e, v51
	s_delay_alu instid0(VALU_DEP_4) | instskip(SKIP_2) | instid1(VALU_DEP_4)
	v_dual_fmamk_f32 v51, v78, 0x3dbcf732, v49 :: v_dual_add_f32 v110, v48, v69
	v_mul_f32_e32 v73, 0xbf4c4adb, v90
	v_add_f32_e32 v111, v47, v71
	v_dual_add_f32 v109, v46, v66 :: v_dual_sub_f32 v46, v3, v65
	v_sub_f32_e32 v47, v2, v64
	v_dual_add_f32 v113, v51, v76 :: v_dual_add_f32 v114, v74, v54
	v_add_f32_e32 v48, v64, v2
	s_delay_alu instid0(VALU_DEP_4)
	v_mul_f32_e32 v68, 0xbeb8f4ab, v46
	v_add_f32_e32 v52, v65, v3
	v_dual_mul_f32 v79, 0xbeb8f4ab, v47 :: v_dual_add_f32 v108, v50, v70
	v_fma_f32 v50, 0x3dbcf732, v77, -v116
	v_fma_f32 v117, 0x3dbcf732, v78, -v49
	v_fmamk_f32 v51, v48, 0x3f6eb680, v68
	s_delay_alu instid0(VALU_DEP_4)
	v_fma_f32 v53, 0x3f6eb680, v52, -v79
	v_add_f32_e32 v49, v6, v24
	v_mul_f32_e32 v69, 0xbf2c7751, v86
	v_add_f32_e32 v45, v45, v55
	v_add_f32_e32 v112, v50, v75
	;; [unrolled: 1-line block ×3, first 2 shown]
	v_dual_add_f32 v54, v51, v0 :: v_dual_add_f32 v55, v53, v1
	v_fmamk_f32 v53, v49, 0x3f3d2fb0, v69
	v_add_f32_e32 v51, v4, v26
	s_delay_alu instid0(VALU_DEP_4) | instskip(SKIP_1) | instid1(VALU_DEP_4)
	v_fma_f32 v56, 0x3f3d2fb0, v50, -v81
	v_dual_mul_f32 v70, 0xbf65296c, v87 :: v_dual_mul_f32 v75, 0xbf65296c, v92
	v_add_f32_e32 v57, v53, v54
	v_add_f32_e32 v53, v5, v27
	s_delay_alu instid0(VALU_DEP_4) | instskip(NEXT) | instid1(VALU_DEP_4)
	v_add_f32_e32 v56, v56, v55
	v_fmamk_f32 v58, v51, 0x3ee437d1, v70
	v_add_f32_e32 v54, v10, v16
	v_mul_f32_e32 v71, 0xbf7ee86f, v88
	v_fma_f32 v59, 0x3ee437d1, v53, -v75
	v_dual_fmac_f32 v116, 0x3dbcf732, v77 :: v_dual_add_f32 v115, v117, v115
	v_add_f32_e32 v55, v11, v17
	v_mul_f32_e32 v77, 0xbf7ee86f, v94
	s_delay_alu instid0(VALU_DEP_4) | instskip(SKIP_1) | instid1(VALU_DEP_3)
	v_dual_add_f32 v57, v58, v57 :: v_dual_add_f32 v58, v59, v56
	v_dual_fmamk_f32 v59, v54, 0x3dbcf732, v71 :: v_dual_add_f32 v56, v8, v18
	v_fma_f32 v60, 0x3dbcf732, v55, -v77
	v_mul_f32_e32 v72, 0xbf763a35, v89
	v_mul_f32_e32 v78, 0xbf763a35, v93
	s_delay_alu instid0(VALU_DEP_4) | instskip(NEXT) | instid1(VALU_DEP_4)
	v_add_f32_e32 v61, v59, v57
	v_dual_add_f32 v57, v9, v19 :: v_dual_add_f32 v60, v60, v58
	s_delay_alu instid0(VALU_DEP_4) | instskip(SKIP_1) | instid1(VALU_DEP_3)
	v_fmamk_f32 v66, v56, 0xbe8c1d8e, v72
	v_dual_add_f32 v58, v14, v28 :: v_dual_add_f32 v59, v15, v29
	v_fma_f32 v67, 0xbe8c1d8e, v57, -v78
	s_delay_alu instid0(VALU_DEP_3) | instskip(SKIP_2) | instid1(VALU_DEP_4)
	v_dual_mul_f32 v80, 0xbf4c4adb, v95 :: v_dual_add_f32 v61, v66, v61
	v_mul_f32_e32 v74, 0xbf06c442, v84
	v_add_f32_e32 v114, v116, v114
	v_dual_add_f32 v66, v67, v60 :: v_dual_fmamk_f32 v67, v58, 0xbf1a4643, v73
	s_delay_alu instid0(VALU_DEP_4) | instskip(SKIP_1) | instid1(VALU_DEP_3)
	v_fma_f32 v76, 0xbf1a4643, v59, -v80
	v_add_f32_e32 v60, v12, v30
	v_dual_add_f32 v118, v67, v61 :: v_dual_add_f32 v61, v13, v31
	s_delay_alu instid0(VALU_DEP_3) | instskip(NEXT) | instid1(VALU_DEP_3)
	v_add_f32_e32 v119, v76, v66
	v_fmamk_f32 v120, v60, 0xbf59a7d5, v74
	v_dual_add_f32 v66, v22, v20 :: v_dual_add_f32 v67, v23, v21
	s_delay_alu instid0(VALU_DEP_4) | instskip(SKIP_1) | instid1(VALU_DEP_4)
	v_fma_f32 v121, 0xbf59a7d5, v61, -v82
	v_mul_f32_e32 v76, 0xbe3c28d5, v85
	v_add_f32_e32 v118, v120, v118
	ds_store_2addr_b64 v251, v[62:63], v[32:33] offset1:1
	ds_store_2addr_b64 v251, v[36:37], v[40:41] offset0:2 offset1:3
	ds_store_2addr_b64 v251, v[44:45], v[99:100] offset0:4 offset1:5
	;; [unrolled: 1-line block ×7, first 2 shown]
	ds_store_b64 v251, v[34:35] offset:128
	v_dual_add_f32 v119, v121, v119 :: v_dual_fmamk_f32 v120, v66, 0xbf7ba420, v76
	v_fma_f32 v121, 0xbf7ba420, v67, -v83
	s_delay_alu instid0(VALU_DEP_1)
	v_dual_add_f32 v237, v120, v118 :: v_dual_add_f32 v238, v121, v119
	s_and_saveexec_b32 s2, vcc_lo
	s_cbranch_execz .LBB0_7
; %bb.6:
	v_mul_f32_e32 v40, 0xbf06c442, v46
	v_mul_f32_e32 v96, 0xbf59a7d5, v60
	;; [unrolled: 1-line block ×3, first 2 shown]
	v_dual_mul_f32 v34, 0xbf59a7d5, v52 :: v_dual_mul_f32 v105, 0xbf59a7d5, v61
	s_delay_alu instid0(VALU_DEP_4) | instskip(SKIP_1) | instid1(VALU_DEP_4)
	v_fmamk_f32 v35, v48, 0xbf59a7d5, v40
	v_mul_f32_e32 v36, 0x3ee437d1, v50
	v_fmamk_f32 v44, v49, 0x3ee437d1, v42
	v_mul_f32_e32 v45, 0xbf7ee86f, v87
	v_mul_f32_e32 v127, 0x3eb8f4ab, v86
	v_add_f32_e32 v35, v35, v0
	v_mul_f32_e32 v110, 0x3f6eb680, v52
	v_dual_mul_f32 v109, 0xbf7ba420, v67 :: v_dual_mul_f32 v114, 0xbf7ba420, v52
	s_delay_alu instid0(VALU_DEP_4) | instskip(NEXT) | instid1(VALU_DEP_4)
	v_fmamk_f32 v129, v49, 0x3f6eb680, v127
	v_dual_add_f32 v35, v44, v35 :: v_dual_fmamk_f32 v44, v51, 0x3dbcf732, v45
	v_fmamk_f32 v32, v47, 0x3f06c442, v34
	v_mul_f32_e32 v111, 0x3f3d2fb0, v50
	v_fmamk_f32 v116, v47, 0x3e3c28d5, v114
	v_fmamk_f32 v33, v91, 0xbf65296c, v36
	s_delay_alu instid0(VALU_DEP_4) | instskip(SKIP_1) | instid1(VALU_DEP_4)
	v_dual_mul_f32 v117, 0x3f6eb680, v50 :: v_dual_add_f32 v32, v32, v1
	v_dual_mul_f32 v38, 0xbf1a4643, v55 :: v_dual_mul_f32 v63, 0xbf1a4643, v58
	v_add_f32_e32 v116, v116, v1
	s_delay_alu instid0(VALU_DEP_3)
	v_dual_mul_f32 v99, 0x3f3d2fb0, v49 :: v_dual_add_f32 v32, v33, v32
	v_mul_f32_e32 v37, 0x3dbcf732, v53
	v_fmamk_f32 v119, v91, 0xbeb8f4ab, v117
	v_fmac_f32_e32 v34, 0xbf06c442, v47
	v_mul_f32_e32 v130, 0xbf06c442, v87
	v_mul_f32_e32 v120, 0xbf59a7d5, v53
	s_delay_alu instid0(VALU_DEP_4) | instskip(SKIP_1) | instid1(VALU_DEP_2)
	v_dual_fmamk_f32 v33, v92, 0x3f7ee86f, v37 :: v_dual_add_f32 v116, v119, v116
	v_dual_mul_f32 v102, 0x3f6eb680, v48 :: v_dual_mul_f32 v39, 0x3f6eb680, v57
	v_dual_fmamk_f32 v119, v92, 0x3f06c442, v120 :: v_dual_add_f32 v32, v33, v32
	v_fmamk_f32 v33, v94, 0xbf4c4adb, v38
	v_mul_f32_e32 v97, 0x3dbcf732, v54
	v_dual_mul_f32 v43, 0x3f3d2fb0, v61 :: v_dual_mul_f32 v122, 0x3f3d2fb0, v55
	v_mul_f32_e32 v112, 0x3f4c4adb, v88
	s_delay_alu instid0(VALU_DEP_4) | instskip(SKIP_4) | instid1(VALU_DEP_4)
	v_add_f32_e32 v32, v33, v32
	v_fmamk_f32 v33, v93, 0x3eb8f4ab, v39
	v_mul_f32_e32 v107, 0x3dbcf732, v55
	v_mul_f32_e32 v128, 0xbe8c1d8e, v61
	v_dual_mul_f32 v62, 0xbe8c1d8e, v56 :: v_dual_mul_f32 v113, 0xbe8c1d8e, v67
	v_dual_add_f32 v32, v33, v32 :: v_dual_mul_f32 v41, 0xbf7ba420, v59
	v_mul_f32_e32 v104, 0xbf1a4643, v59
	v_fmac_f32_e32 v114, 0xbe3c28d5, v47
	s_delay_alu instid0(VALU_DEP_4) | instskip(SKIP_2) | instid1(VALU_DEP_4)
	v_fmamk_f32 v115, v103, 0x3f763a35, v113
	v_mul_f32_e32 v118, 0xbe3c28d5, v90
	v_fmamk_f32 v33, v95, 0x3e3c28d5, v41
	v_dual_fmac_f32 v117, 0x3eb8f4ab, v91 :: v_dual_add_f32 v114, v114, v1
	v_mul_f32_e32 v124, 0x3ee437d1, v59
	s_delay_alu instid0(VALU_DEP_3) | instskip(SKIP_4) | instid1(VALU_DEP_4)
	v_dual_fmac_f32 v113, 0xbf763a35, v103 :: v_dual_add_f32 v32, v33, v32
	v_fmamk_f32 v33, v98, 0xbf2c7751, v43
	v_mul_f32_e32 v101, 0xbf7ba420, v66
	v_fmac_f32_e32 v43, 0x3f2c7751, v98
	v_fmac_f32_e32 v37, 0xbf7ee86f, v92
	v_dual_fmamk_f32 v131, v98, 0x3f763a35, v128 :: v_dual_add_f32 v32, v33, v32
	v_add_f32_e32 v33, v44, v35
	v_fmamk_f32 v35, v54, 0xbf1a4643, v112
	v_mul_f32_e32 v44, 0xbeb8f4ab, v89
	v_mul_f32_e32 v100, 0x3ee437d1, v51
	v_add_f32_e32 v114, v117, v114
	v_mul_f32_e32 v106, 0x3ee437d1, v53
	v_add_f32_e32 v33, v35, v33
	v_fmamk_f32 v35, v56, 0x3f6eb680, v44
	v_fmac_f32_e32 v36, 0x3f65296c, v91
	v_mul_f32_e32 v121, 0x3f2c7751, v84
	v_fmac_f32_e32 v38, 0x3f4c4adb, v94
	v_fmac_f32_e32 v39, 0xbeb8f4ab, v93
	v_add_f32_e32 v33, v35, v33
	v_fmamk_f32 v35, v58, 0xbf7ba420, v118
	v_fma_f32 v40, 0xbf59a7d5, v48, -v40
	v_mul_f32_e32 v134, 0x3f65296c, v90
	v_fmac_f32_e32 v41, 0xbe3c28d5, v95
	s_delay_alu instid0(VALU_DEP_4)
	v_dual_mul_f32 v148, 0x3eb8f4ab, v94 :: v_dual_add_f32 v35, v35, v33
	v_add_f32_e32 v33, v115, v32
	v_dual_add_f32 v32, v119, v116 :: v_dual_fmamk_f32 v115, v94, 0xbf2c7751, v122
	v_mul_f32_e32 v116, 0xbf1a4643, v57
	v_fmac_f32_e32 v122, 0x3f2c7751, v94
	v_fmamk_f32 v123, v60, 0x3f3d2fb0, v121
	v_mul_f32_e32 v108, 0xbe8c1d8e, v57
	s_delay_alu instid0(VALU_DEP_4) | instskip(SKIP_1) | instid1(VALU_DEP_4)
	v_dual_add_f32 v32, v115, v32 :: v_dual_fmamk_f32 v115, v93, 0x3f4c4adb, v116
	v_fmamk_f32 v150, v55, 0x3f6eb680, v148
	v_add_f32_e32 v35, v123, v35
	v_mul_f32_e32 v123, 0xbe3c28d5, v46
	v_mul_f32_e32 v136, 0x3f2c7751, v87
	v_add_f32_e32 v32, v115, v32
	v_fmamk_f32 v115, v95, 0xbf65296c, v124
	v_fma_f32 v45, 0x3dbcf732, v51, -v45
	v_fmamk_f32 v126, v48, 0xbf7ba420, v123
	v_fma_f32 v123, 0xbf7ba420, v48, -v123
	v_mul_f32_e32 v157, 0x3f2c7751, v103
	v_dual_add_f32 v115, v115, v32 :: v_dual_mul_f32 v140, 0xbe3c28d5, v89
	s_delay_alu instid0(VALU_DEP_4) | instskip(SKIP_2) | instid1(VALU_DEP_4)
	v_add_f32_e32 v126, v126, v0
	v_mul_f32_e32 v144, 0xbe3c28d5, v91
	v_mul_f32_e32 v161, 0xbf4c4adb, v91
	v_add_f32_e32 v115, v131, v115
	v_mul_f32_e32 v131, 0xbf4c4adb, v89
	v_fma_f32 v142, 0xbf7ba420, v56, -v140
	v_mul_f32_e32 v169, 0xbf4c4adb, v86
	v_fmamk_f32 v163, v50, 0xbf1a4643, v161
	v_mul_f32_e32 v152, 0xbe3c28d5, v86
	v_fmamk_f32 v133, v56, 0xbf1a4643, v131
	v_fmac_f32_e32 v116, 0xbf4c4adb, v93
	v_mul_f32_e32 v119, 0xbf763a35, v85
	v_fma_f32 v171, 0xbf1a4643, v49, -v169
	v_mul_f32_e32 v146, 0x3f763a35, v92
	v_fma_f32 v153, 0xbf7ba420, v49, -v152
	v_mul_f32_e32 v154, 0x3f763a35, v87
	v_fmamk_f32 v125, v66, 0xbe8c1d8e, v119
	v_mul_f32_e32 v164, 0x3e3c28d5, v92
	v_mul_f32_e32 v168, 0x3f2c7751, v93
	;; [unrolled: 1-line block ×3, first 2 shown]
	v_dual_mul_f32 v176, 0x3f2c7751, v89 :: v_dual_add_f32 v79, v79, v110
	v_dual_add_f32 v32, v125, v35 :: v_dual_fmamk_f32 v125, v51, 0xbf59a7d5, v130
	v_dual_fmac_f32 v120, 0xbf06c442, v92 :: v_dual_add_f32 v35, v129, v126
	v_mul_f32_e32 v129, 0x3dbcf732, v67
	v_dual_mul_f32 v160, 0xbf06c442, v90 :: v_dual_mul_f32 v175, 0xbf06c442, v103
	s_delay_alu instid0(VALU_DEP_3) | instskip(SKIP_3) | instid1(VALU_DEP_4)
	v_add_f32_e32 v114, v120, v114
	v_add_f32_e32 v120, v123, v0
	v_fma_f32 v123, 0x3f6eb680, v49, -v127
	v_dual_add_f32 v35, v125, v35 :: v_dual_fmamk_f32 v132, v103, 0xbf7ee86f, v129
	v_add_f32_e32 v114, v122, v114
	s_delay_alu instid0(VALU_DEP_3) | instskip(SKIP_4) | instid1(VALU_DEP_4)
	v_dual_mul_f32 v173, 0xbf7ee86f, v98 :: v_dual_add_f32 v120, v123, v120
	v_add_f32_e32 v123, v34, v1
	v_fma_f32 v122, 0xbf59a7d5, v51, -v130
	v_mul_f32_e32 v130, 0x3f2c7751, v92
	v_dual_mul_f32 v180, 0xbf06c442, v85 :: v_dual_add_f32 v81, v81, v111
	v_add_f32_e32 v36, v36, v123
	s_delay_alu instid0(VALU_DEP_4) | instskip(SKIP_2) | instid1(VALU_DEP_4)
	v_add_f32_e32 v120, v122, v120
	v_mul_f32_e32 v123, 0xbeb8f4ab, v92
	v_add_f32_e32 v79, v79, v1
	v_dual_add_f32 v111, v3, v1 :: v_dual_add_f32 v36, v37, v36
	v_add_f32_e32 v37, v40, v0
	v_fma_f32 v40, 0x3ee437d1, v49, -v42
	v_add_f32_e32 v75, v75, v106
	s_delay_alu instid0(VALU_DEP_4) | instskip(NEXT) | instid1(VALU_DEP_3)
	v_dual_add_f32 v25, v25, v111 :: v_dual_add_f32 v36, v38, v36
	v_dual_fmamk_f32 v117, v58, 0x3ee437d1, v134 :: v_dual_add_f32 v40, v40, v37
	v_mul_f32_e32 v135, 0x3f7ee86f, v95
	v_dual_mul_f32 v158, 0xbf65296c, v89 :: v_dual_mul_f32 v167, 0xbf65296c, v46
	s_delay_alu instid0(VALU_DEP_4) | instskip(SKIP_3) | instid1(VALU_DEP_4)
	v_add_f32_e32 v36, v39, v36
	v_mul_f32_e32 v126, 0x3f2c7751, v88
	v_dual_add_f32 v39, v45, v40 :: v_dual_add_f32 v114, v116, v114
	v_fma_f32 v40, 0xbf1a4643, v54, -v112
	v_add_f32_e32 v41, v41, v36
	s_delay_alu instid0(VALU_DEP_4) | instskip(SKIP_1) | instid1(VALU_DEP_4)
	v_fmamk_f32 v125, v54, 0x3f3d2fb0, v126
	v_mul_f32_e32 v112, 0xbeb8f4ab, v87
	v_dual_mul_f32 v138, 0xbf65296c, v88 :: v_dual_add_f32 v39, v40, v39
	v_fma_f32 v40, 0x3f6eb680, v56, -v44
	s_delay_alu instid0(VALU_DEP_4) | instskip(SKIP_2) | instid1(VALU_DEP_3)
	v_add_f32_e32 v125, v125, v35
	v_dual_add_f32 v35, v132, v115 :: v_dual_fmac_f32 v128, 0xbf763a35, v98
	v_dual_mul_f32 v132, 0xbf763a35, v46 :: v_dual_add_f32 v25, v27, v25
	v_add_f32_e32 v115, v133, v125
	v_mul_f32_e32 v125, 0xbf763a35, v84
	v_fmac_f32_e32 v124, 0x3f65296c, v95
	v_mul_f32_e32 v133, 0xbe3c28d5, v93
	v_add_f32_e32 v27, v77, v107
	v_add_f32_e32 v115, v117, v115
	v_fma_f32 v38, 0xbe8c1d8e, v60, -v125
	v_fmamk_f32 v117, v60, 0xbe8c1d8e, v125
	v_fma_f32 v122, 0x3f3d2fb0, v54, -v126
	v_add_f32_e32 v114, v124, v114
	v_mul_f32_e32 v124, 0x3f7ee86f, v93
	s_delay_alu instid0(VALU_DEP_4) | instskip(NEXT) | instid1(VALU_DEP_4)
	v_dual_mul_f32 v162, 0x3f4c4adb, v84 :: v_dual_add_f32 v115, v117, v115
	v_dual_mul_f32 v117, 0x3f7ee86f, v85 :: v_dual_add_f32 v120, v122, v120
	v_fma_f32 v122, 0xbf1a4643, v56, -v131
	v_add_f32_e32 v114, v128, v114
	v_mul_f32_e32 v131, 0xbf65296c, v94
	s_delay_alu instid0(VALU_DEP_4) | instskip(SKIP_3) | instid1(VALU_DEP_4)
	v_fmamk_f32 v116, v66, 0x3dbcf732, v117
	v_dual_mul_f32 v92, 0xbf4c4adb, v92 :: v_dual_add_f32 v17, v17, v25
	v_mul_f32_e32 v25, 0x3eb8f4ab, v85
	v_mul_f32_e32 v139, 0xbf4c4adb, v103
	v_dual_add_f32 v34, v116, v115 :: v_dual_add_f32 v115, v122, v120
	v_fma_f32 v116, 0x3ee437d1, v58, -v134
	v_mul_f32_e32 v120, 0xbf4c4adb, v47
	v_mul_f32_e32 v122, 0x3f763a35, v91
	v_add_f32_e32 v39, v40, v39
	v_fma_f32 v40, 0xbf7ba420, v58, -v118
	v_add_f32_e32 v42, v116, v115
	v_mul_f32_e32 v134, 0x3f06c442, v86
	v_mul_f32_e32 v115, 0xbf2c7751, v90
	;; [unrolled: 1-line block ×3, first 2 shown]
	v_fmamk_f32 v145, v50, 0xbf7ba420, v144
	v_add_f32_e32 v38, v38, v42
	v_fma_f32 v42, 0x3dbcf732, v66, -v117
	v_fma_f32 v45, 0xbf59a7d5, v49, -v134
	v_add_f32_e32 v17, v19, v17
	v_fma_f32 v19, 0x3f6eb680, v66, -v25
	s_delay_alu instid0(VALU_DEP_4)
	v_dual_mul_f32 v141, 0xbf7ee86f, v47 :: v_dual_add_f32 v36, v42, v38
	v_fmamk_f32 v42, v50, 0xbe8c1d8e, v122
	v_add_f32_e32 v40, v40, v39
	v_dual_add_f32 v38, v43, v41 :: v_dual_fmamk_f32 v41, v52, 0xbf1a4643, v120
	v_fma_f32 v43, 0x3f3d2fb0, v60, -v121
	v_mul_f32_e32 v121, 0xbf06c442, v94
	v_add_f32_e32 v79, v81, v79
	s_delay_alu instid0(VALU_DEP_4) | instskip(SKIP_4) | instid1(VALU_DEP_4)
	v_add_f32_e32 v39, v113, v38
	v_add_f32_e32 v41, v41, v1
	v_dual_fmac_f32 v129, 0x3f7ee86f, v103 :: v_dual_add_f32 v40, v43, v40
	v_fmamk_f32 v43, v55, 0xbf59a7d5, v121
	v_add_f32_e32 v17, v29, v17
	v_dual_add_f32 v38, v42, v41 :: v_dual_fmamk_f32 v41, v53, 0x3f6eb680, v123
	v_fma_f32 v42, 0xbe8c1d8e, v66, -v119
	v_mul_f32_e32 v119, 0xbf4c4adb, v46
	v_add_f32_e32 v37, v129, v114
	v_mul_f32_e32 v129, 0x3f06c442, v91
	s_delay_alu instid0(VALU_DEP_4) | instskip(NEXT) | instid1(VALU_DEP_4)
	v_dual_add_f32 v41, v41, v38 :: v_dual_add_f32 v38, v42, v40
	v_fma_f32 v40, 0xbf1a4643, v48, -v119
	v_mul_f32_e32 v118, 0x3f763a35, v86
	s_delay_alu instid0(VALU_DEP_3) | instskip(SKIP_1) | instid1(VALU_DEP_4)
	v_dual_fmamk_f32 v44, v50, 0xbf59a7d5, v129 :: v_dual_add_f32 v41, v43, v41
	v_mul_f32_e32 v113, 0xbf06c442, v88
	v_add_f32_e32 v40, v40, v0
	s_delay_alu instid0(VALU_DEP_4) | instskip(SKIP_3) | instid1(VALU_DEP_4)
	v_fma_f32 v43, 0xbe8c1d8e, v49, -v118
	v_mul_f32_e32 v114, 0x3f7ee86f, v89
	v_dual_mul_f32 v91, 0xbf7ee86f, v91 :: v_dual_mul_f32 v86, 0xbf7ee86f, v86
	v_add_f32_e32 v17, v31, v17
	v_add_f32_e32 v40, v43, v40
	v_fma_f32 v43, 0x3f6eb680, v51, -v112
	s_delay_alu instid0(VALU_DEP_4)
	v_fmamk_f32 v179, v50, 0x3dbcf732, v91
	v_mul_f32_e32 v166, 0x3f763a35, v94
	v_mul_f32_e32 v94, 0xbe3c28d5, v94
	v_fmac_f32_e32 v119, 0xbf1a4643, v48
	v_add_f32_e32 v40, v43, v40
	v_fma_f32 v43, 0xbf59a7d5, v54, -v113
	v_dual_add_f32 v17, v21, v17 :: v_dual_fmac_f32 v112, 0x3f6eb680, v51
	v_sub_f32_e32 v21, v99, v69
	s_delay_alu instid0(VALU_DEP_3) | instskip(SKIP_4) | instid1(VALU_DEP_4)
	v_dual_mul_f32 v147, 0xbf4c4adb, v85 :: v_dual_add_f32 v40, v43, v40
	v_fma_f32 v43, 0x3dbcf732, v56, -v114
	v_mul_f32_e32 v125, 0xbf2c7751, v95
	v_add_f32_e32 v17, v23, v17
	v_mul_f32_e32 v149, 0xbf7ee86f, v46
	v_dual_mul_f32 v151, 0xbf65296c, v93 :: v_dual_add_f32 v40, v43, v40
	v_fma_f32 v43, 0x3f3d2fb0, v58, -v115
	v_mul_f32_e32 v127, 0x3f65296c, v103
	v_mul_f32_e32 v103, 0x3eb8f4ab, v103
	;; [unrolled: 1-line block ×3, first 2 shown]
	s_delay_alu instid0(VALU_DEP_4) | instskip(SKIP_1) | instid1(VALU_DEP_4)
	v_dual_add_f32 v13, v13, v17 :: v_dual_add_f32 v40, v43, v40
	v_fma_f32 v43, 0xbf7ba420, v60, -v116
	v_fmamk_f32 v110, v67, 0x3f6eb680, v103
	v_mul_f32_e32 v155, 0x3f4c4adb, v98
	v_dual_mul_f32 v159, 0xbf65296c, v47 :: v_dual_add_f32 v2, v2, v0
	s_delay_alu instid0(VALU_DEP_4) | instskip(SKIP_2) | instid1(VALU_DEP_4)
	v_dual_add_f32 v40, v43, v40 :: v_dual_mul_f32 v117, 0x3f65296c, v85
	v_mul_f32_e32 v165, 0x3f2c7751, v85
	v_fmac_f32_e32 v116, 0xbf7ba420, v60
	v_add_f32_e32 v2, v24, v2
	v_add_f32_e32 v24, v75, v79
	v_fma_f32 v43, 0x3ee437d1, v66, -v117
	v_mul_f32_e32 v177, 0xbf2c7751, v47
	v_fmac_f32_e32 v118, 0xbe8c1d8e, v49
	v_add_f32_e32 v2, v26, v2
	v_add_f32_e32 v24, v27, v24
	;; [unrolled: 1-line block ×3, first 2 shown]
	v_fma_f32 v43, 0xbe8c1d8e, v48, -v132
	v_fmamk_f32 v42, v57, 0x3dbcf732, v124
	v_dual_add_f32 v26, v78, v108 :: v_dual_mul_f32 v181, 0xbf2c7751, v46
	s_delay_alu instid0(VALU_DEP_3) | instskip(NEXT) | instid1(VALU_DEP_3)
	v_dual_add_f32 v2, v16, v2 :: v_dual_add_f32 v43, v43, v0
	v_dual_add_f32 v41, v42, v41 :: v_dual_fmamk_f32 v42, v59, 0x3f3d2fb0, v125
	v_mul_f32_e32 v126, 0xbe3c28d5, v98
	s_delay_alu instid0(VALU_DEP_3) | instskip(SKIP_1) | instid1(VALU_DEP_3)
	v_dual_add_f32 v24, v26, v24 :: v_dual_add_f32 v43, v45, v43
	v_fma_f32 v45, 0x3f3d2fb0, v51, -v136
	v_dual_add_f32 v41, v42, v41 :: v_dual_fmamk_f32 v42, v61, 0xbf7ba420, v126
	v_add_f32_e32 v26, v80, v104
	s_delay_alu instid0(VALU_DEP_3) | instskip(SKIP_1) | instid1(VALU_DEP_4)
	v_dual_add_f32 v18, v18, v2 :: v_dual_add_f32 v43, v45, v43
	v_fma_f32 v45, 0x3ee437d1, v54, -v138
	v_dual_add_f32 v41, v42, v41 :: v_dual_fmamk_f32 v42, v67, 0x3ee437d1, v127
	v_mul_f32_e32 v128, 0xbf763a35, v47
	s_delay_alu instid0(VALU_DEP_3) | instskip(SKIP_1) | instid1(VALU_DEP_3)
	v_dual_add_f32 v18, v28, v18 :: v_dual_add_f32 v45, v45, v43
	v_mul_f32_e32 v137, 0xbeb8f4ab, v98
	v_dual_add_f32 v41, v42, v41 :: v_dual_fmamk_f32 v42, v52, 0xbe8c1d8e, v128
	s_delay_alu instid0(VALU_DEP_3) | instskip(SKIP_2) | instid1(VALU_DEP_4)
	v_dual_add_f32 v18, v30, v18 :: v_dual_mul_f32 v89, 0x3f06c442, v89
	v_fmac_f32_e32 v114, 0x3dbcf732, v56
	v_fmac_f32_e32 v138, 0x3ee437d1, v54
	v_add_f32_e32 v42, v42, v1
	s_delay_alu instid0(VALU_DEP_4) | instskip(NEXT) | instid1(VALU_DEP_2)
	v_dual_add_f32 v18, v20, v18 :: v_dual_fmac_f32 v169, 0xbf1a4643, v49
	v_add_f32_e32 v42, v44, v42
	s_delay_alu instid0(VALU_DEP_2) | instskip(SKIP_2) | instid1(VALU_DEP_3)
	v_dual_fmamk_f32 v44, v53, 0x3f3d2fb0, v130 :: v_dual_add_f32 v17, v22, v18
	v_fma_f32 v18, 0xbf1a4643, v52, -v120
	v_fmac_f32_e32 v113, 0xbf59a7d5, v54
	v_dual_add_f32 v13, v15, v13 :: v_dual_add_f32 v42, v44, v42
	v_fmamk_f32 v44, v55, 0x3ee437d1, v131
	v_add_f32_e32 v12, v12, v17
	v_add_f32_e32 v15, v18, v1
	v_fma_f32 v17, 0xbe8c1d8e, v50, -v122
	s_delay_alu instid0(VALU_DEP_4) | instskip(SKIP_1) | instid1(VALU_DEP_3)
	v_dual_add_f32 v9, v9, v13 :: v_dual_add_f32 v42, v44, v42
	v_fmamk_f32 v44, v57, 0xbf7ba420, v133
	v_dual_add_f32 v12, v14, v12 :: v_dual_add_f32 v13, v17, v15
	v_fma_f32 v14, 0x3f6eb680, v53, -v123
	s_delay_alu instid0(VALU_DEP_3) | instskip(SKIP_1) | instid1(VALU_DEP_4)
	v_add_f32_e32 v42, v44, v42
	v_fmamk_f32 v44, v59, 0x3dbcf732, v135
	v_add_f32_e32 v8, v8, v12
	v_fma_f32 v12, 0xbf59a7d5, v55, -v121
	s_delay_alu instid0(VALU_DEP_3) | instskip(SKIP_1) | instid1(VALU_DEP_4)
	v_add_f32_e32 v42, v44, v42
	v_fmamk_f32 v44, v61, 0x3f6eb680, v137
	v_add_f32_e32 v8, v10, v8
	;; [unrolled: 5-line block ×3, first 2 shown]
	v_fma_f32 v8, 0x3f3d2fb0, v59, -v125
	s_delay_alu instid0(VALU_DEP_3) | instskip(SKIP_4) | instid1(VALU_DEP_4)
	v_add_f32_e32 v43, v44, v42
	v_fmamk_f32 v42, v52, 0x3dbcf732, v141
	v_dual_mul_f32 v143, 0x3f7ee86f, v90 :: v_dual_add_f32 v44, v142, v45
	v_mul_f32_e32 v142, 0xbeb8f4ab, v84
	v_add_f32_e32 v4, v6, v4
	v_add_f32_e32 v42, v42, v1
	s_delay_alu instid0(VALU_DEP_4) | instskip(NEXT) | instid1(VALU_DEP_3)
	v_fma_f32 v45, 0x3dbcf732, v58, -v143
	v_add_f32_e32 v4, v64, v4
	s_delay_alu instid0(VALU_DEP_3) | instskip(NEXT) | instid1(VALU_DEP_3)
	v_add_f32_e32 v42, v145, v42
	v_add_f32_e32 v44, v45, v44
	v_fma_f32 v45, 0x3f6eb680, v60, -v142
	v_fmamk_f32 v145, v53, 0xbe8c1d8e, v146
	s_delay_alu instid0(VALU_DEP_2) | instskip(SKIP_1) | instid1(VALU_DEP_3)
	v_add_f32_e32 v44, v45, v44
	v_fma_f32 v45, 0xbf1a4643, v66, -v147
	v_add_f32_e32 v145, v145, v42
	s_delay_alu instid0(VALU_DEP_2) | instskip(SKIP_1) | instid1(VALU_DEP_3)
	v_add_f32_e32 v42, v45, v44
	v_fma_f32 v44, 0x3dbcf732, v48, -v149
	v_add_f32_e32 v45, v150, v145
	v_fmamk_f32 v145, v57, 0x3ee437d1, v151
	v_mul_f32_e32 v150, 0xbf06c442, v95
	s_delay_alu instid0(VALU_DEP_4) | instskip(SKIP_1) | instid1(VALU_DEP_4)
	v_dual_mul_f32 v95, 0x3f763a35, v95 :: v_dual_add_f32 v44, v44, v0
	v_fmac_f32_e32 v149, 0x3dbcf732, v48
	v_add_f32_e32 v45, v145, v45
	s_delay_alu instid0(VALU_DEP_4) | instskip(NEXT) | instid1(VALU_DEP_4)
	v_fmamk_f32 v145, v59, 0xbf59a7d5, v150
	v_dual_fmac_f32 v115, 0x3f3d2fb0, v58 :: v_dual_add_f32 v44, v153, v44
	v_fma_f32 v153, 0xbe8c1d8e, v51, -v154
	s_delay_alu instid0(VALU_DEP_3) | instskip(SKIP_2) | instid1(VALU_DEP_4)
	v_dual_fmac_f32 v132, 0xbe8c1d8e, v48 :: v_dual_add_f32 v45, v145, v45
	v_fmamk_f32 v145, v61, 0xbf1a4643, v155
	v_fmac_f32_e32 v134, 0xbf59a7d5, v49
	v_add_f32_e32 v44, v153, v44
	s_delay_alu instid0(VALU_DEP_3) | instskip(SKIP_4) | instid1(VALU_DEP_4)
	v_add_f32_e32 v45, v145, v45
	v_fmamk_f32 v145, v67, 0x3f3d2fb0, v157
	v_dual_sub_f32 v17, v63, v73 :: v_dual_fmac_f32 v136, 0x3f3d2fb0, v51
	v_add_f32_e32 v9, v11, v9
	v_add_f32_e32 v11, v14, v13
	;; [unrolled: 1-line block ×3, first 2 shown]
	v_fmamk_f32 v145, v52, 0x3ee437d1, v159
	s_delay_alu instid0(VALU_DEP_4) | instskip(NEXT) | instid1(VALU_DEP_4)
	v_dual_sub_f32 v14, v96, v74 :: v_dual_add_f32 v5, v5, v9
	v_dual_add_f32 v9, v12, v11 :: v_dual_sub_f32 v12, v101, v76
	s_delay_alu instid0(VALU_DEP_3) | instskip(SKIP_1) | instid1(VALU_DEP_4)
	v_add_f32_e32 v145, v145, v1
	v_fmac_f32_e32 v25, 0x3f6eb680, v66
	v_add_f32_e32 v5, v7, v5
	s_delay_alu instid0(VALU_DEP_3) | instskip(SKIP_1) | instid1(VALU_DEP_1)
	v_add_f32_e32 v145, v163, v145
	v_fmamk_f32 v163, v53, 0xbf7ba420, v164
	v_add_f32_e32 v145, v163, v145
	v_fmamk_f32 v163, v55, 0xbe8c1d8e, v166
	s_delay_alu instid0(VALU_DEP_1) | instskip(SKIP_1) | instid1(VALU_DEP_1)
	v_add_f32_e32 v145, v163, v145
	v_fmamk_f32 v163, v57, 0x3f3d2fb0, v168
	v_add_f32_e32 v145, v163, v145
	v_fmamk_f32 v163, v59, 0x3f6eb680, v170
	s_delay_alu instid0(VALU_DEP_1) | instskip(SKIP_1) | instid1(VALU_DEP_1)
	v_add_f32_e32 v145, v163, v145
	v_fmamk_f32 v163, v61, 0x3dbcf732, v173
	v_add_f32_e32 v145, v163, v145
	v_fmamk_f32 v163, v67, 0xbf59a7d5, v175
	s_delay_alu instid0(VALU_DEP_1) | instskip(NEXT) | instid1(VALU_DEP_1)
	v_dual_mul_f32 v156, 0x3eb8f4ab, v88 :: v_dual_add_f32 v47, v163, v145
	v_fma_f32 v153, 0x3f6eb680, v54, -v156
	s_delay_alu instid0(VALU_DEP_1) | instskip(SKIP_1) | instid1(VALU_DEP_2)
	v_dual_fmamk_f32 v145, v52, 0x3f3d2fb0, v177 :: v_dual_add_f32 v44, v153, v44
	v_fma_f32 v153, 0x3ee437d1, v56, -v158
	v_dual_add_f32 v145, v145, v1 :: v_dual_fmac_f32 v158, 0x3ee437d1, v56
	s_delay_alu instid0(VALU_DEP_2) | instskip(SKIP_1) | instid1(VALU_DEP_3)
	v_add_f32_e32 v44, v153, v44
	v_fma_f32 v153, 0xbf59a7d5, v58, -v160
	v_add_f32_e32 v145, v179, v145
	v_fmamk_f32 v179, v53, 0xbf1a4643, v92
	v_mul_f32_e32 v172, 0x3e3c28d5, v87
	s_delay_alu instid0(VALU_DEP_4) | instskip(SKIP_1) | instid1(VALU_DEP_4)
	v_dual_mul_f32 v87, 0xbf4c4adb, v87 :: v_dual_add_f32 v44, v153, v44
	v_fma_f32 v153, 0xbf1a4643, v60, -v162
	v_add_f32_e32 v145, v179, v145
	v_fmamk_f32 v179, v55, 0xbf7ba420, v94
	v_mul_f32_e32 v174, 0x3f763a35, v88
	s_delay_alu instid0(VALU_DEP_4) | instskip(SKIP_1) | instid1(VALU_DEP_4)
	v_add_f32_e32 v44, v153, v44
	v_fma_f32 v153, 0x3f3d2fb0, v66, -v165
	v_dual_add_f32 v145, v179, v145 :: v_dual_mul_f32 v178, 0xbeb8f4ab, v90
	v_mul_f32_e32 v90, 0x3f763a35, v90
	v_fma_f32 v179, 0x3dbcf732, v49, -v86
	s_delay_alu instid0(VALU_DEP_4) | instskip(SKIP_4) | instid1(VALU_DEP_4)
	v_add_f32_e32 v44, v153, v44
	v_fma_f32 v153, 0x3ee437d1, v48, -v167
	v_fma_f32 v163, 0x3f6eb680, v58, -v178
	v_fmac_f32_e32 v167, 0x3ee437d1, v48
	v_fmac_f32_e32 v165, 0x3f3d2fb0, v66
	v_add_f32_e32 v153, v153, v0
	v_dual_add_f32 v7, v10, v9 :: v_dual_fmac_f32 v140, 0xbf7ba420, v56
	v_fma_f32 v9, 0xbe8c1d8e, v52, -v128
	v_fma_f32 v10, 0xbf59a7d5, v50, -v129
	s_delay_alu instid0(VALU_DEP_4) | instskip(SKIP_4) | instid1(VALU_DEP_4)
	v_add_f32_e32 v153, v171, v153
	v_fma_f32 v171, 0xbf7ba420, v51, -v172
	v_add_f32_e32 v6, v8, v7
	v_add_f32_e32 v8, v119, v0
	v_fma_f32 v7, 0xbf7ba420, v61, -v126
	v_add_f32_e32 v153, v171, v153
	v_fma_f32 v171, 0xbe8c1d8e, v54, -v174
	s_delay_alu instid0(VALU_DEP_4) | instskip(NEXT) | instid1(VALU_DEP_4)
	v_add_f32_e32 v8, v118, v8
	v_add_f32_e32 v6, v7, v6
	v_fma_f32 v7, 0x3ee437d1, v67, -v127
	v_fmac_f32_e32 v152, 0xbf7ba420, v49
	v_add_f32_e32 v153, v171, v153
	v_fma_f32 v171, 0x3f3d2fb0, v56, -v176
	v_fmac_f32_e32 v143, 0x3dbcf732, v58
	v_add_f32_e32 v9, v9, v1
	v_dual_add_f32 v7, v7, v6 :: v_dual_add_f32 v6, v112, v8
	s_delay_alu instid0(VALU_DEP_4)
	v_add_f32_e32 v153, v171, v153
	v_mul_f32_e32 v171, 0xbf7ee86f, v84
	v_mul_f32_e32 v84, 0x3f65296c, v84
	v_add_f32_e32 v8, v10, v9
	v_fma_f32 v9, 0x3f3d2fb0, v53, -v130
	v_add_f32_e32 v153, v163, v153
	v_fma_f32 v163, 0x3dbcf732, v60, -v171
	v_fma_f32 v75, 0x3ee437d1, v60, -v84
	v_add_f32_e32 v10, v132, v0
	v_add_f32_e32 v8, v9, v8
	v_fma_f32 v9, 0x3ee437d1, v55, -v131
	v_add_f32_e32 v153, v163, v153
	v_fma_f32 v163, 0xbf59a7d5, v66, -v180
	v_add_f32_e32 v10, v134, v10
	v_dual_fmac_f32 v86, 0x3dbcf732, v49 :: v_dual_fmac_f32 v171, 0x3dbcf732, v60
	v_add_f32_e32 v8, v9, v8
	s_delay_alu instid0(VALU_DEP_4) | instskip(SKIP_3) | instid1(VALU_DEP_4)
	v_dual_add_f32 v46, v163, v153 :: v_dual_fmamk_f32 v163, v57, 0xbf59a7d5, v93
	v_fma_f32 v153, 0x3f3d2fb0, v48, -v181
	v_fma_f32 v9, 0xbf7ba420, v57, -v133
	v_add_f32_e32 v10, v136, v10
	v_dual_fmac_f32 v174, 0xbe8c1d8e, v54 :: v_dual_add_f32 v145, v163, v145
	v_fmamk_f32 v163, v59, 0xbe8c1d8e, v95
	v_dual_mul_f32 v98, 0x3f65296c, v98 :: v_dual_add_f32 v153, v153, v0
	v_add_f32_e32 v8, v9, v8
	v_fma_f32 v9, 0x3dbcf732, v59, -v135
	s_delay_alu instid0(VALU_DEP_4) | instskip(NEXT) | instid1(VALU_DEP_4)
	v_add_f32_e32 v145, v163, v145
	v_fmamk_f32 v163, v61, 0x3ee437d1, v98
	v_add_f32_e32 v153, v179, v153
	v_fma_f32 v179, 0xbf1a4643, v51, -v87
	v_mul_f32_e32 v88, 0xbe3c28d5, v88
	s_delay_alu instid0(VALU_DEP_4) | instskip(SKIP_1) | instid1(VALU_DEP_4)
	v_dual_add_f32 v10, v138, v10 :: v_dual_add_f32 v145, v163, v145
	v_fma_f32 v163, 0xbf59a7d5, v56, -v89
	v_add_f32_e32 v153, v179, v153
	s_delay_alu instid0(VALU_DEP_4) | instskip(NEXT) | instid1(VALU_DEP_4)
	v_fma_f32 v179, 0xbf7ba420, v54, -v88
	v_dual_add_f32 v5, v65, v5 :: v_dual_add_f32 v10, v140, v10
	v_add_f32_e32 v3, v110, v145
	v_fma_f32 v145, 0xbe8c1d8e, v58, -v90
	s_delay_alu instid0(VALU_DEP_4) | instskip(SKIP_3) | instid1(VALU_DEP_4)
	v_dual_add_f32 v153, v179, v153 :: v_dual_add_f32 v8, v9, v8
	v_fma_f32 v9, 0x3f6eb680, v61, -v137
	v_add_f32_e32 v10, v143, v10
	v_fmac_f32_e32 v178, 0x3f6eb680, v58
	v_add_f32_e32 v110, v163, v153
	v_fmac_f32_e32 v172, 0xbf7ba420, v51
	v_add_f32_e32 v8, v9, v8
	v_fma_f32 v9, 0xbf1a4643, v67, -v139
	v_fmac_f32_e32 v160, 0xbf59a7d5, v58
	v_dual_add_f32 v81, v145, v110 :: v_dual_fmac_f32 v176, 0x3f3d2fb0, v56
	v_fmac_f32_e32 v181, 0x3f3d2fb0, v48
	v_dual_fmac_f32 v89, 0xbf59a7d5, v56 :: v_dual_fmac_f32 v180, 0xbf59a7d5, v66
	s_delay_alu instid0(VALU_DEP_3) | instskip(SKIP_2) | instid1(VALU_DEP_3)
	v_add_f32_e32 v16, v75, v81
	v_fmac_f32_e32 v90, 0xbe8c1d8e, v58
	v_fmac_f32_e32 v84, 0x3ee437d1, v60
	v_add_f32_e32 v2, v19, v16
	v_sub_f32_e32 v16, v102, v68
	v_add_f32_e32 v19, v26, v24
	v_add_f32_e32 v24, v82, v105
	v_dual_fmac_f32 v162, 0xbf1a4643, v60 :: v_dual_fmac_f32 v87, 0xbf1a4643, v51
	s_delay_alu instid0(VALU_DEP_4) | instskip(NEXT) | instid1(VALU_DEP_3)
	v_add_f32_e32 v16, v16, v0
	v_dual_add_f32 v19, v24, v19 :: v_dual_add_f32 v24, v83, v109
	s_delay_alu instid0(VALU_DEP_2) | instskip(NEXT) | instid1(VALU_DEP_1)
	v_dual_add_f32 v20, v21, v16 :: v_dual_sub_f32 v21, v100, v70
	v_dual_add_f32 v16, v24, v19 :: v_dual_add_f32 v19, v21, v20
	v_sub_f32_e32 v20, v97, v71
	s_delay_alu instid0(VALU_DEP_1) | instskip(NEXT) | instid1(VALU_DEP_1)
	v_dual_add_f32 v18, v20, v19 :: v_dual_sub_f32 v19, v62, v72
	v_add_f32_e32 v15, v19, v18
	v_fma_f32 v19, 0x3f6eb680, v67, -v103
	v_mul_u32_u24_e32 v18, 17, v241
	s_delay_alu instid0(VALU_DEP_3) | instskip(SKIP_1) | instid1(VALU_DEP_2)
	v_add_f32_e32 v13, v17, v15
	v_fma_f32 v17, 0x3f3d2fb0, v52, -v177
	v_dual_add_f32 v11, v14, v13 :: v_dual_lshlrev_b32 v18, 3, v18
	v_fma_f32 v13, 0x3ee437d1, v52, -v159
	v_fmac_f32_e32 v154, 0xbe8c1d8e, v51
	v_fma_f32 v14, 0xbf1a4643, v50, -v161
	s_delay_alu instid0(VALU_DEP_4) | instskip(SKIP_4) | instid1(VALU_DEP_4)
	v_add_f32_e32 v15, v12, v11
	v_fma_f32 v11, 0x3dbcf732, v52, -v141
	v_fmac_f32_e32 v142, 0x3f6eb680, v60
	v_fma_f32 v12, 0xbf7ba420, v50, -v144
	v_add_f32_e32 v13, v13, v1
	v_add_f32_e32 v11, v11, v1
	s_delay_alu instid0(VALU_DEP_4) | instskip(NEXT) | instid1(VALU_DEP_3)
	v_dual_add_f32 v9, v9, v8 :: v_dual_add_f32 v8, v142, v10
	v_add_f32_e32 v13, v14, v13
	v_fma_f32 v14, 0xbf7ba420, v53, -v164
	s_delay_alu instid0(VALU_DEP_4)
	v_add_f32_e32 v10, v12, v11
	v_fma_f32 v11, 0xbe8c1d8e, v53, -v146
	v_add_f32_e32 v6, v113, v6
	v_add_f32_e32 v1, v17, v1
	;; [unrolled: 1-line block ×3, first 2 shown]
	v_fma_f32 v14, 0xbe8c1d8e, v55, -v166
	v_add_f32_e32 v10, v11, v10
	v_fma_f32 v11, 0x3f6eb680, v55, -v148
	v_add_f32_e32 v6, v114, v6
	v_add_f32_e32 v12, v149, v0
	v_dual_fmac_f32 v156, 0x3f6eb680, v54 :: v_dual_add_f32 v13, v14, v13
	s_delay_alu instid0(VALU_DEP_4) | instskip(SKIP_4) | instid1(VALU_DEP_4)
	v_add_f32_e32 v10, v11, v10
	v_fma_f32 v11, 0x3ee437d1, v57, -v151
	v_add_f32_e32 v6, v115, v6
	v_fma_f32 v14, 0x3f3d2fb0, v57, -v168
	v_fma_f32 v17, 0xbf59a7d5, v67, -v175
	v_add_f32_e32 v10, v11, v10
	v_fma_f32 v11, 0xbf59a7d5, v59, -v150
	s_delay_alu instid0(VALU_DEP_4) | instskip(SKIP_1) | instid1(VALU_DEP_3)
	v_dual_add_f32 v13, v14, v13 :: v_dual_add_f32 v6, v116, v6
	v_fma_f32 v14, 0x3f6eb680, v59, -v170
	v_add_f32_e32 v10, v11, v10
	v_fma_f32 v11, 0xbf1a4643, v61, -v155
	s_delay_alu instid0(VALU_DEP_1) | instskip(SKIP_1) | instid1(VALU_DEP_1)
	v_add_f32_e32 v10, v11, v10
	v_fma_f32 v11, 0x3f3d2fb0, v67, -v157
	v_dual_add_f32 v11, v11, v10 :: v_dual_add_f32 v12, v152, v12
	s_delay_alu instid0(VALU_DEP_1) | instskip(NEXT) | instid1(VALU_DEP_1)
	v_dual_fmac_f32 v147, 0xbf1a4643, v66 :: v_dual_add_f32 v12, v154, v12
	v_dual_fmac_f32 v117, 0x3ee437d1, v66 :: v_dual_add_f32 v8, v147, v8
	s_delay_alu instid0(VALU_DEP_2) | instskip(NEXT) | instid1(VALU_DEP_2)
	v_add_f32_e32 v12, v156, v12
	v_add_f32_e32 v6, v117, v6
	s_delay_alu instid0(VALU_DEP_2) | instskip(NEXT) | instid1(VALU_DEP_1)
	v_add_f32_e32 v12, v158, v12
	v_add_f32_e32 v12, v160, v12
	s_delay_alu instid0(VALU_DEP_1) | instskip(SKIP_3) | instid1(VALU_DEP_2)
	v_add_f32_e32 v10, v162, v12
	v_add_f32_e32 v12, v14, v13
	v_fma_f32 v13, 0x3dbcf732, v61, -v173
	v_add_f32_e32 v14, v167, v0
	v_add_f32_e32 v12, v13, v12
	s_delay_alu instid0(VALU_DEP_2) | instskip(SKIP_1) | instid1(VALU_DEP_2)
	v_add_f32_e32 v13, v169, v14
	v_fma_f32 v14, 0x3dbcf732, v50, -v91
	v_add_f32_e32 v13, v172, v13
	s_delay_alu instid0(VALU_DEP_2) | instskip(SKIP_1) | instid1(VALU_DEP_3)
	v_add_f32_e32 v1, v14, v1
	v_fma_f32 v14, 0xbf1a4643, v53, -v92
	v_add_f32_e32 v13, v174, v13
	s_delay_alu instid0(VALU_DEP_2) | instskip(SKIP_1) | instid1(VALU_DEP_3)
	v_add_f32_e32 v1, v14, v1
	v_fma_f32 v14, 0xbf7ba420, v55, -v94
	v_dual_add_f32 v13, v176, v13 :: v_dual_add_f32 v10, v165, v10
	s_delay_alu instid0(VALU_DEP_2) | instskip(SKIP_2) | instid1(VALU_DEP_4)
	v_add_f32_e32 v1, v14, v1
	v_fma_f32 v14, 0xbf59a7d5, v57, -v93
	v_add_f32_e32 v0, v181, v0
	v_dual_fmac_f32 v88, 0xbf7ba420, v54 :: v_dual_add_f32 v13, v178, v13
	s_delay_alu instid0(VALU_DEP_3) | instskip(NEXT) | instid1(VALU_DEP_3)
	v_add_f32_e32 v1, v14, v1
	v_add_f32_e32 v0, v86, v0
	v_fma_f32 v14, 0xbe8c1d8e, v59, -v95
	s_delay_alu instid0(VALU_DEP_4) | instskip(NEXT) | instid1(VALU_DEP_2)
	v_add_f32_e32 v13, v171, v13
	v_dual_add_f32 v0, v87, v0 :: v_dual_add_f32 v1, v14, v1
	v_fma_f32 v14, 0x3ee437d1, v61, -v98
	s_delay_alu instid0(VALU_DEP_1) | instskip(NEXT) | instid1(VALU_DEP_3)
	v_dual_add_f32 v14, v14, v1 :: v_dual_add_f32 v1, v17, v12
	v_add_f32_e32 v0, v88, v0
	s_delay_alu instid0(VALU_DEP_1) | instskip(NEXT) | instid1(VALU_DEP_1)
	v_add_f32_e32 v0, v89, v0
	v_add_f32_e32 v0, v90, v0
	s_delay_alu instid0(VALU_DEP_1) | instskip(SKIP_1) | instid1(VALU_DEP_2)
	v_add_f32_e32 v20, v84, v0
	v_dual_add_f32 v0, v180, v13 :: v_dual_add_f32 v13, v19, v14
	v_add_f32_e32 v12, v25, v20
	ds_store_2addr_b64 v18, v[4:5], v[15:16] offset1:1
	ds_store_2addr_b64 v18, v[2:3], v[46:47] offset0:2 offset1:3
	ds_store_2addr_b64 v18, v[44:45], v[42:43] offset0:4 offset1:5
	;; [unrolled: 1-line block ×7, first 2 shown]
	ds_store_b64 v18, v[237:238] offset:128
.LBB0_7:
	s_wait_alu 0xfffe
	s_or_b32 exec_lo, exec_lo, s2
	v_add_co_u32 v96, null, 0x66, v236
	v_add_nc_u32_e32 v139, 0x2000, v239
	global_wb scope:SCOPE_SE
	s_wait_dscnt 0x0
	s_barrier_signal -1
	s_barrier_wait -1
	global_inv scope:SCOPE_SE
	ds_load_2addr_b64 v[16:19], v139 offset0:98 offset1:149
	v_and_b32_e32 v60, 0xff, v96
	v_add_co_u32 v97, null, 0x99, v236
	v_and_b32_e32 v0, 0xff, v236
	v_and_b32_e32 v1, 0xff, v241
	s_delay_alu instid0(VALU_DEP_4) | instskip(NEXT) | instid1(VALU_DEP_4)
	v_mul_lo_u16 v8, 0xf1, v60
	v_and_b32_e32 v12, 0xff, v97
	v_add_nc_u32_e32 v138, 0x1000, v239
	v_mul_lo_u16 v0, 0xf1, v0
	v_mul_lo_u16 v1, 0xf1, v1
	v_lshrrev_b16 v49, 12, v8
	v_mul_lo_u16 v12, 0xf1, v12
	ds_load_2addr_b64 v[22:25], v138 offset0:202 offset1:253
	v_lshrrev_b16 v44, 12, v0
	v_lshrrev_b16 v48, 12, v1
	v_mul_lo_u16 v8, v49, 17
	v_lshrrev_b16 v54, 12, v12
	v_add_co_u32 v101, null, 0xcc, v236
	v_mul_lo_u16 v0, v44, 17
	s_delay_alu instid0(VALU_DEP_4) | instskip(NEXT) | instid1(VALU_DEP_4)
	v_sub_nc_u16 v8, v96, v8
	v_mul_lo_u16 v12, v54, 17
	v_mul_lo_u16 v1, v48, 17
	v_add_co_u32 v100, null, 0xff, v236
	s_delay_alu instid0(VALU_DEP_4)
	v_and_b32_e32 v50, 0xff, v8
	v_sub_nc_u16 v45, v236, v0
	v_sub_nc_u16 v12, v97, v12
	;; [unrolled: 1-line block ×3, first 2 shown]
	v_add_nc_u32_e32 v156, 0x2800, v239
	v_lshlrev_b32_e32 v8, 4, v50
	v_lshlrev_b16 v1, 1, v45
	v_add_co_u32 v117, null, 0x1cb, v236
	v_and_b32_e32 v51, 0xff, v0
	global_load_b128 v[8:11], v8, s[0:1]
	v_and_b32_e32 v55, 0xff, v12
	v_and_b32_e32 v0, 0xfe, v1
	v_add_co_u32 v108, null, 0x132, v236
	v_add_co_u32 v109, null, 0x165, v236
	s_delay_alu instid0(VALU_DEP_4) | instskip(NEXT) | instid1(VALU_DEP_4)
	v_lshlrev_b32_e32 v12, 4, v55
	v_lshlrev_b32_e32 v4, 3, v0
	v_mad_u16 v75, v44, 51, v45
	v_add_co_u32 v116, null, 0x198, v236
	global_load_b128 v[12:15], v12, s[0:1]
	v_lshlrev_b32_e32 v1, 4, v51
	global_load_b128 v[4:7], v4, s[0:1]
	v_add_co_u32 v124, null, 0x1fe, v236
	v_add_nc_u32_e32 v157, 0x1800, v239
	global_load_b128 v[0:3], v1, s[0:1]
	v_add_nc_u32_e32 v159, 0x2c00, v239
	v_add_nc_u32_e32 v169, 0x800, v239
	s_wait_loadcnt 0x3
	scratch_store_b128 off, v[8:11], off offset:152 ; 16-byte Folded Spill
	s_wait_loadcnt 0x2
	scratch_store_b128 off, v[12:15], off offset:168 ; 16-byte Folded Spill
	s_wait_loadcnt_dscnt 0x100
	v_dual_mul_f32 v106, v22, v13 :: v_dual_mul_f32 v21, v17, v7
	v_mul_f32_e32 v73, v16, v7
	s_wait_loadcnt 0x0
	v_mul_f32_e32 v20, v19, v3
	v_mul_f32_e32 v93, v18, v3
	v_fma_f32 v74, v16, v6, -v21
	v_fmac_f32_e32 v73, v17, v6
	scratch_store_b128 off, v[0:3], off offset:120 ; 16-byte Folded Spill
	v_fma_f32 v94, v18, v2, -v20
	v_fmac_f32_e32 v93, v19, v2
	ds_load_2addr_b64 v[16:19], v138 offset0:100 offset1:151
	v_mul_lo_u16 v60, 0xa1, v60
	s_delay_alu instid0(VALU_DEP_1) | instskip(NEXT) | instid1(VALU_DEP_1)
	v_lshrrev_b16 v60, 13, v60
	v_mul_lo_u16 v60, v60, 51
	s_delay_alu instid0(VALU_DEP_1) | instskip(SKIP_4) | instid1(VALU_DEP_3)
	v_sub_nc_u16 v60, v96, v60
	s_wait_dscnt 0x0
	v_mul_f32_e32 v20, v17, v1
	v_mul_f32_e32 v95, v16, v1
	;; [unrolled: 1-line block ×3, first 2 shown]
	v_fma_f32 v98, v16, v0, -v20
	s_delay_alu instid0(VALU_DEP_3) | instskip(NEXT) | instid1(VALU_DEP_3)
	v_dual_mul_f32 v16, v19, v9 :: v_dual_fmac_f32 v95, v17, v0
	v_fmac_f32_e32 v102, v19, v8
	s_delay_alu instid0(VALU_DEP_2)
	v_fma_f32 v99, v18, v8, -v16
	ds_load_2addr_b64 v[16:19], v139 offset0:200 offset1:251
	s_wait_dscnt 0x0
	v_mul_f32_e32 v20, v17, v11
	v_mul_f32_e32 v104, v16, v11
	v_mul_f32_e32 v68, v18, v15
	s_delay_alu instid0(VALU_DEP_2) | instskip(NEXT) | instid1(VALU_DEP_4)
	v_dual_fmac_f32 v104, v17, v10 :: v_dual_and_b32 v17, 0xff, v101
	v_fma_f32 v103, v16, v10, -v20
	v_mul_f32_e32 v16, v19, v15
	s_delay_alu instid0(VALU_DEP_3) | instskip(NEXT) | instid1(VALU_DEP_2)
	v_mul_lo_u16 v17, 0xf1, v17
	v_fma_f32 v66, v18, v14, -v16
	v_and_b32_e32 v16, 0xffff, v100
	s_delay_alu instid0(VALU_DEP_3) | instskip(NEXT) | instid1(VALU_DEP_2)
	v_lshrrev_b16 v63, 12, v17
	v_mul_u32_u24_e32 v16, 0xf0f1, v16
	s_delay_alu instid0(VALU_DEP_1) | instskip(NEXT) | instid1(VALU_DEP_1)
	v_lshrrev_b32_e32 v57, 20, v16
	v_mul_lo_u16 v16, v57, 17
	s_delay_alu instid0(VALU_DEP_1) | instskip(SKIP_2) | instid1(VALU_DEP_3)
	v_sub_nc_u16 v59, v100, v16
	v_mul_lo_u16 v16, v63, 17
	v_lshlrev_b32_e32 v100, 4, v100
	v_lshlrev_b16 v17, 1, v59
	s_delay_alu instid0(VALU_DEP_3) | instskip(SKIP_1) | instid1(VALU_DEP_3)
	v_sub_nc_u16 v16, v101, v16
	v_lshlrev_b32_e32 v101, 4, v101
	v_and_b32_e32 v17, 0xffff, v17
	s_delay_alu instid0(VALU_DEP_3) | instskip(SKIP_1) | instid1(VALU_DEP_3)
	v_and_b32_e32 v65, 0xff, v16
	v_add_nc_u32_e32 v158, 0x1c00, v239
	v_lshlrev_b32_e32 v16, 3, v17
	v_mul_f32_e32 v17, v23, v13
	s_delay_alu instid0(VALU_DEP_1)
	v_fma_f32 v105, v22, v12, -v17
	v_lshlrev_b32_e32 v17, 4, v65
	s_clause 0x1
	global_load_b128 v[8:11], v17, s[0:1]
	global_load_b128 v[0:3], v16, s[0:1]
	ds_load_2addr_b64 v[30:33], v157 offset0:48 offset1:99
	s_wait_loadcnt 0x1
	v_mul_f32_e32 v26, v25, v9
	v_mul_f32_e32 v110, v24, v9
	s_wait_loadcnt_dscnt 0x0
	v_mul_f32_e32 v120, v30, v1
	s_clause 0x1
	scratch_store_b128 off, v[8:11], off offset:204
	scratch_store_b128 off, v[0:3], off offset:184
	v_fma_f32 v107, v24, v8, -v26
	v_fmac_f32_e32 v110, v25, v8
	ds_load_2addr_b64 v[24:27], v156 offset0:46 offset1:97
	v_fmac_f32_e32 v120, v31, v0
	s_wait_dscnt 0x0
	v_mul_f32_e32 v28, v25, v11
	v_mul_f32_e32 v112, v24, v11
	;; [unrolled: 1-line block ×3, first 2 shown]
	s_delay_alu instid0(VALU_DEP_3) | instskip(SKIP_1) | instid1(VALU_DEP_4)
	v_fma_f32 v111, v24, v10, -v28
	v_mul_f32_e32 v24, v27, v3
	v_dual_fmac_f32 v112, v25, v10 :: v_dual_and_b32 v25, 0xffff, v109
	s_delay_alu instid0(VALU_DEP_4) | instskip(NEXT) | instid1(VALU_DEP_3)
	v_fmac_f32_e32 v114, v27, v2
	v_fma_f32 v113, v26, v2, -v24
	v_and_b32_e32 v24, 0xffff, v108
	s_delay_alu instid0(VALU_DEP_4) | instskip(SKIP_1) | instid1(VALU_DEP_3)
	v_mul_u32_u24_e32 v25, 0xf0f1, v25
	v_mul_f32_e32 v26, v31, v1
	v_mul_u32_u24_e32 v24, 0xf0f1, v24
	s_delay_alu instid0(VALU_DEP_3) | instskip(NEXT) | instid1(VALU_DEP_3)
	v_lshrrev_b32_e32 v61, 20, v25
	v_fma_f32 v119, v30, v0, -v26
	s_delay_alu instid0(VALU_DEP_3) | instskip(NEXT) | instid1(VALU_DEP_1)
	v_lshrrev_b32_e32 v115, 20, v24
	v_mul_lo_u16 v24, v115, 17
	s_delay_alu instid0(VALU_DEP_1) | instskip(SKIP_2) | instid1(VALU_DEP_2)
	v_sub_nc_u16 v118, v108, v24
	v_mul_lo_u16 v24, v61, 17
	v_lshlrev_b32_e32 v108, 4, v108
	v_sub_nc_u16 v62, v109, v24
	s_delay_alu instid0(VALU_DEP_4) | instskip(SKIP_1) | instid1(VALU_DEP_3)
	v_lshlrev_b16 v24, 1, v118
	v_lshlrev_b32_e32 v109, 4, v109
	v_lshlrev_b16 v25, 1, v62
	s_delay_alu instid0(VALU_DEP_3) | instskip(NEXT) | instid1(VALU_DEP_2)
	v_and_b32_e32 v24, 0xffff, v24
	v_dual_fmac_f32 v68, v19, v14 :: v_dual_and_b32 v25, 0xffff, v25
	s_delay_alu instid0(VALU_DEP_2) | instskip(SKIP_2) | instid1(VALU_DEP_4)
	v_lshlrev_b32_e32 v24, 3, v24
	v_fmac_f32_e32 v106, v23, v12
	v_add_nc_u32_e32 v168, 0xc00, v239
	v_lshlrev_b32_e32 v25, 3, v25
	s_clause 0x1
	global_load_b128 v[28:31], v24, s[0:1]
	global_load_b128 v[24:27], v25, s[0:1]
	ds_load_2addr_b64 v[38:41], v157 offset0:150 offset1:201
	s_wait_loadcnt 0x1
	v_mul_f32_e32 v34, v33, v29
	v_mul_f32_e32 v122, v32, v29
	s_wait_loadcnt_dscnt 0x0
	v_mul_f32_e32 v131, v38, v25
	s_delay_alu instid0(VALU_DEP_3) | instskip(NEXT) | instid1(VALU_DEP_3)
	v_fma_f32 v121, v32, v28, -v34
	v_fmac_f32_e32 v122, v33, v28
	ds_load_2addr_b64 v[32:35], v156 offset0:148 offset1:199
	s_wait_dscnt 0x0
	v_dual_fmac_f32 v131, v39, v24 :: v_dual_mul_f32 v36, v33, v31
	v_mul_f32_e32 v125, v32, v31
	v_mul_f32_e32 v127, v34, v27
	s_delay_alu instid0(VALU_DEP_3) | instskip(NEXT) | instid1(VALU_DEP_3)
	v_fma_f32 v123, v32, v30, -v36
	v_dual_mul_f32 v32, v35, v27 :: v_dual_fmac_f32 v125, v33, v30
	v_and_b32_e32 v33, 0xffff, v117
	s_delay_alu instid0(VALU_DEP_4) | instskip(NEXT) | instid1(VALU_DEP_3)
	v_fmac_f32_e32 v127, v35, v26
	v_fma_f32 v126, v34, v26, -v32
	v_and_b32_e32 v32, 0xffff, v116
	s_delay_alu instid0(VALU_DEP_4) | instskip(SKIP_1) | instid1(VALU_DEP_3)
	v_mul_u32_u24_e32 v33, 0xf0f1, v33
	v_mul_f32_e32 v34, v39, v25
	v_mul_u32_u24_e32 v32, 0xf0f1, v32
	s_delay_alu instid0(VALU_DEP_3) | instskip(NEXT) | instid1(VALU_DEP_3)
	v_lshrrev_b32_e32 v64, 20, v33
	v_fma_f32 v130, v38, v24, -v34
	s_delay_alu instid0(VALU_DEP_3) | instskip(NEXT) | instid1(VALU_DEP_1)
	v_lshrrev_b32_e32 v128, 20, v32
	v_mul_lo_u16 v32, v128, 17
	s_delay_alu instid0(VALU_DEP_1) | instskip(SKIP_2) | instid1(VALU_DEP_2)
	v_sub_nc_u16 v129, v116, v32
	v_mul_lo_u16 v32, v64, 17
	v_lshlrev_b32_e32 v116, 4, v116
	v_sub_nc_u16 v67, v117, v32
	s_delay_alu instid0(VALU_DEP_4) | instskip(SKIP_1) | instid1(VALU_DEP_3)
	v_lshlrev_b16 v32, 1, v129
	v_lshlrev_b32_e32 v117, 4, v117
	v_lshlrev_b16 v33, 1, v67
	s_delay_alu instid0(VALU_DEP_3) | instskip(NEXT) | instid1(VALU_DEP_2)
	v_and_b32_e32 v32, 0xffff, v32
	v_and_b32_e32 v33, 0xffff, v33
	s_delay_alu instid0(VALU_DEP_2) | instskip(NEXT) | instid1(VALU_DEP_2)
	v_lshlrev_b32_e32 v32, 3, v32
	v_lshlrev_b32_e32 v33, 3, v33
	s_clause 0x1
	global_load_b128 v[36:39], v32, s[0:1]
	global_load_b128 v[32:35], v33, s[0:1]
	ds_load_2addr_b64 v[69:72], v158 offset0:124 offset1:175
	scratch_store_b128 off, v[4:7], off offset:136 ; 16-byte Folded Spill
	s_wait_loadcnt 0x1
	v_mul_f32_e32 v42, v41, v37
	v_mul_f32_e32 v133, v40, v37
	s_wait_loadcnt_dscnt 0x0
	v_mul_f32_e32 v141, v69, v33
	s_delay_alu instid0(VALU_DEP_3) | instskip(NEXT) | instid1(VALU_DEP_3)
	v_fma_f32 v132, v40, v36, -v42
	v_fmac_f32_e32 v133, v41, v36
	ds_load_2addr_b64 v[40:43], v159 offset0:122 offset1:173
	s_wait_dscnt 0x0
	v_dual_fmac_f32 v141, v70, v32 :: v_dual_mul_f32 v46, v41, v39
	v_mul_f32_e32 v135, v40, v39
	v_mul_f32_e32 v137, v42, v35
	s_delay_alu instid0(VALU_DEP_3) | instskip(NEXT) | instid1(VALU_DEP_3)
	v_fma_f32 v134, v40, v38, -v46
	v_dual_mul_f32 v40, v43, v35 :: v_dual_fmac_f32 v135, v41, v38
	v_mul_f32_e32 v41, v70, v33
	s_delay_alu instid0(VALU_DEP_4) | instskip(NEXT) | instid1(VALU_DEP_3)
	v_dual_fmac_f32 v137, v43, v34 :: v_dual_and_b32 v48, 0xffff, v48
	v_fma_f32 v136, v42, v34, -v40
	v_and_b32_e32 v40, 0xffff, v124
	s_delay_alu instid0(VALU_DEP_4) | instskip(NEXT) | instid1(VALU_DEP_4)
	v_fma_f32 v140, v69, v32, -v41
	v_mul_u32_u24_e32 v48, 51, v48
	s_delay_alu instid0(VALU_DEP_3) | instskip(NEXT) | instid1(VALU_DEP_1)
	v_mul_u32_u24_e32 v40, 0xf0f1, v40
	v_lshrrev_b32_e32 v52, 20, v40
	s_delay_alu instid0(VALU_DEP_1) | instskip(NEXT) | instid1(VALU_DEP_1)
	v_mul_lo_u16 v40, v52, 17
	v_sub_nc_u16 v53, v124, v40
	v_lshlrev_b32_e32 v124, 4, v124
	s_delay_alu instid0(VALU_DEP_2) | instskip(NEXT) | instid1(VALU_DEP_1)
	v_lshlrev_b16 v40, 1, v53
	v_and_b32_e32 v40, 0xffff, v40
	s_delay_alu instid0(VALU_DEP_1) | instskip(SKIP_4) | instid1(VALU_DEP_2)
	v_lshlrev_b32_e32 v40, 3, v40
	global_load_b128 v[40:43], v40, s[0:1]
	s_wait_loadcnt 0x0
	v_mul_f32_e32 v46, v72, v41
	v_mul_f32_e32 v58, v71, v41
	v_fma_f32 v56, v71, v40, -v46
	ds_load_2addr_b64 v[44:47], v168 offset0:126 offset1:177
	s_wait_dscnt 0x0
	v_dual_fmac_f32 v58, v72, v40 :: v_dual_mul_f32 v69, v47, v5
	s_delay_alu instid0(VALU_DEP_1) | instskip(SKIP_2) | instid1(VALU_DEP_1)
	v_fma_f32 v76, v46, v4, -v69
	ds_load_2addr_b64 v[69:72], v239 offset1:51
	v_dual_mul_f32 v46, v46, v5 :: v_dual_sub_f32 v143, v76, v74
	v_fmac_f32_e32 v46, v47, v4
	s_delay_alu instid0(VALU_DEP_1) | instskip(SKIP_3) | instid1(VALU_DEP_2)
	v_sub_f32_e32 v142, v46, v73
	v_add_f32_e32 v77, v46, v73
	s_wait_dscnt 0x0
	v_dual_add_f32 v47, v70, v46 :: v_dual_add_f32 v46, v69, v76
	v_fma_f32 v70, -0.5, v77, v70
	s_delay_alu instid0(VALU_DEP_2) | instskip(SKIP_1) | instid1(VALU_DEP_4)
	v_add_f32_e32 v47, v47, v73
	v_add_f32_e32 v73, v76, v74
	v_add_f32_e32 v46, v46, v74
	s_delay_alu instid0(VALU_DEP_4) | instskip(SKIP_1) | instid1(VALU_DEP_4)
	v_fmamk_f32 v90, v143, 0xbf5db3d7, v70
	v_fmac_f32_e32 v70, 0x3f5db3d7, v143
	v_fma_f32 v69, -0.5, v73, v69
	v_and_b32_e32 v73, 0xff, v75
	s_delay_alu instid0(VALU_DEP_1)
	v_dual_fmamk_f32 v89, v142, 0x3f5db3d7, v69 :: v_dual_lshlrev_b32 v0, 3, v73
	v_fmac_f32_e32 v69, 0xbf5db3d7, v142
	ds_load_b64 v[91:92], v239 offset:13056
	ds_load_2addr_b64 v[73:76], v239 offset0:102 offset1:153
	ds_load_2addr_b64 v[77:80], v239 offset0:204 offset1:255
	;; [unrolled: 1-line block ×4, first 2 shown]
	global_wb scope:SCOPE_SE
	s_wait_storecnt_dscnt 0x0
	s_barrier_signal -1
	s_barrier_wait -1
	global_inv scope:SCOPE_SE
	ds_store_2addr_b64 v0, v[46:47], v[89:90] offset1:17
	ds_store_b64 v0, v[69:70] offset:272
	v_dual_add_f32 v46, v72, v95 :: v_dual_add_f32 v69, v95, v93
	v_dual_add_f32 v70, v98, v94 :: v_dual_sub_f32 v89, v95, v93
	v_sub_f32_e32 v90, v98, v94
	s_delay_alu instid0(VALU_DEP_3) | instskip(NEXT) | instid1(VALU_DEP_3)
	v_dual_add_f32 v47, v46, v93 :: v_dual_add_f32 v46, v71, v98
	v_fma_f32 v71, -0.5, v70, v71
	v_fmac_f32_e32 v72, -0.5, v69
	scratch_store_b32 off, v0, off offset:200 ; 4-byte Folded Spill
	v_add_lshl_u32 v0, v48, v51, 3
	v_dual_add_f32 v46, v46, v94 :: v_dual_fmamk_f32 v69, v89, 0x3f5db3d7, v71
	v_fmamk_f32 v70, v90, 0xbf5db3d7, v72
	v_dual_add_f32 v48, v102, v104 :: v_dual_fmac_f32 v71, 0xbf5db3d7, v89
	v_dual_fmac_f32 v72, 0x3f5db3d7, v90 :: v_dual_sub_f32 v51, v102, v104
	ds_store_2addr_b64 v0, v[46:47], v[69:70] offset1:17
	v_dual_add_f32 v46, v74, v102 :: v_dual_add_f32 v69, v99, v103
	v_fma_f32 v70, -0.5, v48, v74
	v_and_b32_e32 v48, 0xffff, v49
	ds_store_b64 v0, v[71:72] offset:272
	v_dual_add_f32 v47, v46, v104 :: v_dual_add_f32 v46, v73, v99
	v_sub_f32_e32 v71, v99, v103
	v_fma_f32 v69, -0.5, v69, v73
	v_mul_u32_u24_e32 v48, 51, v48
	scratch_store_b32 off, v0, off offset:220 ; 4-byte Folded Spill
	v_dual_add_f32 v46, v46, v103 :: v_dual_fmamk_f32 v49, v71, 0xbf5db3d7, v70
	v_fmac_f32_e32 v70, 0x3f5db3d7, v71
	v_add_lshl_u32 v0, v48, v50, 3
	v_fmamk_f32 v48, v51, 0x3f5db3d7, v69
	v_dual_fmac_f32 v69, 0xbf5db3d7, v51 :: v_dual_sub_f32 v50, v106, v68
	v_sub_f32_e32 v51, v105, v66
	scratch_store_b32 off, v0, off offset:224 ; 4-byte Folded Spill
	ds_store_2addr_b64 v0, v[46:47], v[48:49] offset1:17
	v_add_f32_e32 v48, v106, v68
	v_add_f32_e32 v46, v76, v106
	v_add_f32_e32 v49, v105, v66
	ds_store_b64 v0, v[69:70] offset:272
	v_fmac_f32_e32 v76, -0.5, v48
	v_dual_add_f32 v47, v46, v68 :: v_dual_and_b32 v48, 0xffff, v54
	v_add_f32_e32 v46, v75, v105
	v_fma_f32 v75, -0.5, v49, v75
	s_delay_alu instid0(VALU_DEP_4) | instskip(NEXT) | instid1(VALU_DEP_4)
	v_fmamk_f32 v49, v51, 0xbf5db3d7, v76
	v_mul_u32_u24_e32 v48, 51, v48
	v_fmac_f32_e32 v76, 0x3f5db3d7, v51
	v_add_f32_e32 v46, v46, v66
	v_sub_f32_e32 v54, v110, v112
	s_delay_alu instid0(VALU_DEP_4)
	v_add_lshl_u32 v0, v48, v55, 3
	v_fmamk_f32 v48, v50, 0x3f5db3d7, v75
	v_fmac_f32_e32 v75, 0xbf5db3d7, v50
	v_and_b32_e32 v50, 0xffff, v63
	v_sub_f32_e32 v55, v107, v111
	scratch_store_b32 off, v0, off offset:228 ; 4-byte Folded Spill
	ds_store_2addr_b64 v0, v[46:47], v[48:49] offset1:17
	v_add_f32_e32 v46, v78, v110
	v_dual_add_f32 v49, v110, v112 :: v_dual_add_f32 v48, v107, v111
	v_mul_u32_u24_e32 v50, 51, v50
	ds_store_b64 v0, v[75:76] offset:272
	v_dual_add_f32 v47, v46, v112 :: v_dual_add_f32 v46, v77, v107
	v_fma_f32 v48, -0.5, v48, v77
	v_fma_f32 v49, -0.5, v49, v78
	v_add_lshl_u32 v0, v50, v65, 3
	v_mad_co_u64_u32 v[65:66], null, 0x50, v236, s[0:1]
	v_add_f32_e32 v46, v46, v111
	v_fmamk_f32 v50, v54, 0x3f5db3d7, v48
	v_dual_fmamk_f32 v51, v55, 0xbf5db3d7, v49 :: v_dual_fmac_f32 v48, 0xbf5db3d7, v54
	v_dual_fmac_f32 v49, 0x3f5db3d7, v55 :: v_dual_sub_f32 v54, v119, v113
	scratch_store_b32 off, v0, off offset:232 ; 4-byte Folded Spill
	ds_store_2addr_b64 v0, v[46:47], v[50:51] offset1:17
	v_add_f32_e32 v46, v80, v120
	ds_store_b64 v0, v[48:49] offset:272
	v_mad_u16 v48, v57, 51, v59
	v_add_f32_e32 v49, v120, v114
	v_dual_add_f32 v51, v119, v113 :: v_dual_sub_f32 v50, v120, v114
	v_dual_add_f32 v47, v46, v114 :: v_dual_add_f32 v46, v79, v119
	s_delay_alu instid0(VALU_DEP_3) | instskip(NEXT) | instid1(VALU_DEP_3)
	v_fmac_f32_e32 v80, -0.5, v49
	v_fma_f32 v79, -0.5, v51, v79
	v_dual_sub_f32 v55, v121, v123 :: v_dual_and_b32 v48, 0xffff, v48
	s_delay_alu instid0(VALU_DEP_4) | instskip(NEXT) | instid1(VALU_DEP_4)
	v_add_f32_e32 v46, v46, v113
	v_fmamk_f32 v49, v54, 0xbf5db3d7, v80
	v_fmac_f32_e32 v80, 0x3f5db3d7, v54
	s_delay_alu instid0(VALU_DEP_4)
	v_lshlrev_b32_e32 v0, 3, v48
	v_fmamk_f32 v48, v50, 0x3f5db3d7, v79
	v_fmac_f32_e32 v79, 0xbf5db3d7, v50
	v_mad_u16 v50, v115, 51, v118
	v_sub_f32_e32 v54, v122, v125
	scratch_store_b32 off, v0, off offset:236 ; 4-byte Folded Spill
	ds_store_2addr_b64 v0, v[46:47], v[48:49] offset1:17
	v_add_f32_e32 v46, v82, v122
	v_dual_add_f32 v49, v122, v125 :: v_dual_add_f32 v48, v121, v123
	v_and_b32_e32 v50, 0xffff, v50
	ds_store_b64 v0, v[79:80] offset:272
	v_add_f32_e32 v47, v46, v125
	v_add_f32_e32 v46, v81, v121
	v_fma_f32 v48, -0.5, v48, v81
	v_fma_f32 v49, -0.5, v49, v82
	v_lshlrev_b32_e32 v0, 3, v50
	s_delay_alu instid0(VALU_DEP_4) | instskip(NEXT) | instid1(VALU_DEP_4)
	v_add_f32_e32 v46, v46, v123
	v_fmamk_f32 v50, v54, 0x3f5db3d7, v48
	s_delay_alu instid0(VALU_DEP_4)
	v_dual_fmamk_f32 v51, v55, 0xbf5db3d7, v49 :: v_dual_fmac_f32 v48, 0xbf5db3d7, v54
	v_dual_fmac_f32 v49, 0x3f5db3d7, v55 :: v_dual_sub_f32 v54, v130, v126
	scratch_store_b32 off, v0, off offset:240 ; 4-byte Folded Spill
	ds_store_2addr_b64 v0, v[46:47], v[50:51] offset1:17
	v_add_f32_e32 v46, v84, v131
	ds_store_b64 v0, v[48:49] offset:272
	v_mad_u16 v48, v61, 51, v62
	v_add_f32_e32 v49, v131, v127
	v_dual_add_f32 v51, v130, v126 :: v_dual_sub_f32 v50, v131, v127
	v_dual_add_f32 v47, v46, v127 :: v_dual_add_f32 v46, v83, v130
	s_delay_alu instid0(VALU_DEP_3) | instskip(NEXT) | instid1(VALU_DEP_3)
	v_fmac_f32_e32 v84, -0.5, v49
	v_fma_f32 v83, -0.5, v51, v83
	v_dual_sub_f32 v55, v132, v134 :: v_dual_and_b32 v48, 0xffff, v48
	s_delay_alu instid0(VALU_DEP_4) | instskip(NEXT) | instid1(VALU_DEP_4)
	v_add_f32_e32 v46, v46, v126
	v_fmamk_f32 v49, v54, 0xbf5db3d7, v84
	v_fmac_f32_e32 v84, 0x3f5db3d7, v54
	s_delay_alu instid0(VALU_DEP_4)
	v_lshlrev_b32_e32 v0, 3, v48
	v_fmamk_f32 v48, v50, 0x3f5db3d7, v83
	v_fmac_f32_e32 v83, 0xbf5db3d7, v50
	v_mad_u16 v50, v128, 51, v129
	v_sub_f32_e32 v54, v133, v135
	scratch_store_b32 off, v0, off offset:244 ; 4-byte Folded Spill
	ds_store_2addr_b64 v0, v[46:47], v[48:49] offset1:17
	v_dual_add_f32 v46, v86, v133 :: v_dual_add_f32 v49, v133, v135
	v_add_f32_e32 v48, v132, v134
	v_and_b32_e32 v57, 0xffff, v50
	ds_store_b64 v0, v[83:84] offset:272
	v_dual_add_f32 v47, v46, v135 :: v_dual_add_f32 v46, v85, v132
	v_fma_f32 v48, -0.5, v48, v85
	v_fma_f32 v49, -0.5, v49, v86
	v_lshlrev_b32_e32 v0, 3, v57
	s_delay_alu instid0(VALU_DEP_4) | instskip(NEXT) | instid1(VALU_DEP_4)
	v_add_f32_e32 v46, v46, v134
	v_fmamk_f32 v50, v54, 0x3f5db3d7, v48
	s_delay_alu instid0(VALU_DEP_4)
	v_dual_fmamk_f32 v51, v55, 0xbf5db3d7, v49 :: v_dual_fmac_f32 v48, 0xbf5db3d7, v54
	v_dual_fmac_f32 v49, 0x3f5db3d7, v55 :: v_dual_sub_f32 v54, v140, v136
	scratch_store_b32 off, v0, off offset:248 ; 4-byte Folded Spill
	ds_store_2addr_b64 v0, v[46:47], v[50:51] offset1:17
	v_add_f32_e32 v46, v88, v141
	ds_store_b64 v0, v[48:49] offset:272
	v_add_f32_e32 v48, v141, v137
	v_mad_u16 v49, v64, 51, v67
	v_dual_add_f32 v51, v140, v136 :: v_dual_sub_f32 v50, v141, v137
	v_dual_add_f32 v47, v46, v137 :: v_dual_add_f32 v46, v87, v140
	s_delay_alu instid0(VALU_DEP_4) | instskip(NEXT) | instid1(VALU_DEP_3)
	v_fmac_f32_e32 v88, -0.5, v48
	v_fma_f32 v87, -0.5, v51, v87
	s_delay_alu instid0(VALU_DEP_3) | instskip(NEXT) | instid1(VALU_DEP_3)
	v_dual_add_f32 v46, v46, v136 :: v_dual_and_b32 v51, 0xffff, v49
	v_fmamk_f32 v49, v54, 0xbf5db3d7, v88
	s_delay_alu instid0(VALU_DEP_3) | instskip(NEXT) | instid1(VALU_DEP_3)
	v_fmamk_f32 v48, v50, 0x3f5db3d7, v87
	v_lshlrev_b32_e32 v0, 3, v51
	v_mad_u16 v51, v52, 51, v53
	v_fmac_f32_e32 v87, 0xbf5db3d7, v50
	v_fmac_f32_e32 v88, 0x3f5db3d7, v54
	ds_store_2addr_b64 v0, v[46:47], v[48:49] offset1:17
	v_mul_f32_e32 v46, v91, v43
	v_mul_f32_e32 v47, v92, v43
	v_and_b32_e32 v51, 0xffff, v51
	scratch_store_b32 off, v0, off offset:252 ; 4-byte Folded Spill
	ds_store_b64 v0, v[87:88] offset:272
	v_fmac_f32_e32 v46, v92, v42
	v_fma_f32 v48, v91, v42, -v47
	v_dual_add_f32 v47, v45, v58 :: v_dual_lshlrev_b32 v0, 3, v51
	s_delay_alu instid0(VALU_DEP_3) | instskip(NEXT) | instid1(VALU_DEP_3)
	v_dual_add_f32 v49, v58, v46 :: v_dual_and_b32 v92, 0xff, v60
	v_add_f32_e32 v52, v56, v48
	v_sub_f32_e32 v50, v58, v46
	s_delay_alu instid0(VALU_DEP_4) | instskip(SKIP_1) | instid1(VALU_DEP_4)
	v_dual_add_f32 v47, v47, v46 :: v_dual_add_f32 v46, v44, v56
	v_sub_f32_e32 v53, v56, v48
	v_fma_f32 v44, -0.5, v52, v44
	v_fmac_f32_e32 v45, -0.5, v49
	scratch_store_b32 off, v0, off offset:256 ; 4-byte Folded Spill
	v_add_f32_e32 v46, v46, v48
	v_fmamk_f32 v48, v50, 0x3f5db3d7, v44
	v_dual_fmamk_f32 v49, v53, 0xbf5db3d7, v45 :: v_dual_fmac_f32 v44, 0xbf5db3d7, v50
	v_fmac_f32_e32 v45, 0x3f5db3d7, v53
	ds_store_2addr_b64 v0, v[46:47], v[48:49] offset1:17
	ds_store_b64 v0, v[44:45] offset:272
	global_wb scope:SCOPE_SE
	s_wait_storecnt_dscnt 0x0
	s_barrier_signal -1
	s_barrier_wait -1
	global_inv scope:SCOPE_SE
	s_clause 0x1
	global_load_b128 v[44:47], v[65:66], off offset:272
	global_load_b128 v[48:51], v[65:66], off offset:288
	ds_load_2addr_b64 v[52:55], v169 offset0:50 offset1:101
	s_wait_loadcnt_dscnt 0x100
	v_mul_f32_e32 v56, v53, v47
	v_mul_f32_e32 v90, v52, v47
	;; [unrolled: 1-line block ×3, first 2 shown]
	s_delay_alu instid0(VALU_DEP_3) | instskip(SKIP_1) | instid1(VALU_DEP_4)
	v_fma_f32 v91, v52, v46, -v56
	v_mul_f32_e32 v52, v55, v47
	v_fmac_f32_e32 v90, v53, v46
	s_delay_alu instid0(VALU_DEP_4) | instskip(NEXT) | instid1(VALU_DEP_3)
	v_fmac_f32_e32 v121, v55, v46
	v_fma_f32 v122, v54, v46, -v52
	ds_load_2addr_b64 v[52:55], v138 offset0:100 offset1:151
	s_wait_loadcnt_dscnt 0x0
	v_mul_f32_e32 v56, v53, v51
	v_mul_f32_e32 v176, v52, v51
	v_mul_f32_e32 v119, v54, v51
	s_delay_alu instid0(VALU_DEP_3) | instskip(SKIP_1) | instid1(VALU_DEP_4)
	v_fma_f32 v179, v52, v50, -v56
	v_mul_f32_e32 v52, v55, v51
	v_fmac_f32_e32 v176, v53, v50
	s_delay_alu instid0(VALU_DEP_4) | instskip(NEXT) | instid1(VALU_DEP_3)
	v_fmac_f32_e32 v119, v55, v50
	v_fma_f32 v120, v54, v50, -v52
	s_clause 0x2
	global_load_b128 v[56:59], v[65:66], off offset:304
	global_load_b128 v[52:55], v[65:66], off offset:320
	;; [unrolled: 1-line block ×3, first 2 shown]
	ds_load_2addr_b64 v[61:64], v157 offset0:150 offset1:201
	s_wait_loadcnt_dscnt 0x200
	v_mul_f32_e32 v67, v62, v59
	v_mul_f32_e32 v180, v61, v59
	v_mul_f32_e32 v123, v63, v59
	s_delay_alu instid0(VALU_DEP_3) | instskip(NEXT) | instid1(VALU_DEP_3)
	v_fma_f32 v184, v61, v58, -v67
	v_dual_mul_f32 v61, v64, v59 :: v_dual_fmac_f32 v180, v62, v58
	s_delay_alu instid0(VALU_DEP_3) | instskip(NEXT) | instid1(VALU_DEP_2)
	v_fmac_f32_e32 v123, v64, v58
	v_fma_f32 v125, v63, v58, -v61
	ds_load_2addr_b64 v[61:64], v139 offset0:200 offset1:251
	s_wait_loadcnt_dscnt 0x100
	v_mul_f32_e32 v67, v62, v55
	v_mul_f32_e32 v175, v61, v55
	;; [unrolled: 1-line block ×3, first 2 shown]
	s_delay_alu instid0(VALU_DEP_3) | instskip(SKIP_1) | instid1(VALU_DEP_4)
	v_fma_f32 v181, v61, v54, -v67
	v_mul_f32_e32 v61, v64, v55
	v_fmac_f32_e32 v175, v62, v54
	s_delay_alu instid0(VALU_DEP_4) | instskip(NEXT) | instid1(VALU_DEP_3)
	v_fmac_f32_e32 v126, v64, v54
	v_fma_f32 v127, v63, v54, -v61
	ds_load_2addr_b64 v[60:63], v159 offset0:122 offset1:173
	s_wait_loadcnt_dscnt 0x0
	v_mul_f32_e32 v72, v61, v71
	v_mul_f32_e32 v89, v60, v71
	;; [unrolled: 1-line block ×3, first 2 shown]
	s_delay_alu instid0(VALU_DEP_3) | instskip(NEXT) | instid1(VALU_DEP_3)
	v_fma_f32 v88, v60, v70, -v72
	v_dual_mul_f32 v60, v63, v71 :: v_dual_fmac_f32 v89, v61, v70
	s_delay_alu instid0(VALU_DEP_3) | instskip(NEXT) | instid1(VALU_DEP_2)
	v_fmac_f32_e32 v133, v63, v70
	v_fma_f32 v132, v62, v70, -v60
	ds_load_2addr_b64 v[60:63], v239 offset0:204 offset1:255
	s_wait_dscnt 0x0
	v_mul_f32_e32 v141, v60, v45
	v_mul_f32_e32 v72, v61, v45
	s_delay_alu instid0(VALU_DEP_2) | instskip(NEXT) | instid1(VALU_DEP_2)
	v_fmac_f32_e32 v141, v61, v44
	v_fma_f32 v140, v60, v44, -v72
	s_delay_alu instid0(VALU_DEP_2) | instskip(SKIP_2) | instid1(VALU_DEP_1)
	v_add_f32_e32 v171, v141, v133
	v_mad_co_u64_u32 v[86:87], null, 0x50, v92, s[0:1]
	v_lshlrev_b32_e32 v0, 3, v92
	v_add_nc_u32_e32 v92, 0x2000, v0
	global_load_b128 v[64:67], v[86:87], off offset:272
	s_wait_loadcnt 0x0
	v_mul_f32_e32 v60, v63, v65
	v_mul_f32_e32 v93, v62, v65
	s_delay_alu instid0(VALU_DEP_2) | instskip(NEXT) | instid1(VALU_DEP_2)
	v_fma_f32 v94, v62, v64, -v60
	v_fmac_f32_e32 v93, v63, v64
	ds_load_2addr_b64 v[60:63], v169 offset0:152 offset1:203
	s_wait_dscnt 0x0
	v_mul_f32_e32 v72, v63, v49
	v_mul_f32_e32 v185, v62, v49
	;; [unrolled: 1-line block ×3, first 2 shown]
	s_delay_alu instid0(VALU_DEP_3) | instskip(SKIP_4) | instid1(VALU_DEP_3)
	v_fma_f32 v186, v62, v48, -v72
	ds_load_2addr_b64 v[72:75], v168 offset0:126 offset1:177
	v_dual_mul_f32 v62, v61, v67 :: v_dual_fmac_f32 v185, v63, v48
	v_fmac_f32_e32 v95, v61, v66
	v_sub_f32_e32 v255, v186, v181
	v_fma_f32 v98, v60, v66, -v62
	s_wait_dscnt 0x0
	v_mul_f32_e32 v60, v73, v49
	v_mul_f32_e32 v128, v72, v49
	s_delay_alu instid0(VALU_DEP_2)
	v_fma_f32 v129, v72, v48, -v60
	s_clause 0x1
	global_load_b128 v[76:79], v[86:87], off offset:288
	global_load_b128 v[60:63], v[86:87], off offset:304
	v_fmac_f32_e32 v128, v73, v48
	ds_load_2addr_b64 v[82:85], v139 offset0:98 offset1:149
	s_wait_dscnt 0x0
	v_mul_f32_e32 v134, v82, v53
	s_delay_alu instid0(VALU_DEP_1) | instskip(SKIP_3) | instid1(VALU_DEP_2)
	v_fmac_f32_e32 v134, v83, v52
	s_wait_loadcnt 0x1
	v_mul_f32_e32 v72, v75, v77
	v_mul_f32_e32 v104, v74, v77
	v_fma_f32 v106, v74, v76, -v72
	s_delay_alu instid0(VALU_DEP_2) | instskip(SKIP_4) | instid1(VALU_DEP_2)
	v_fmac_f32_e32 v104, v75, v76
	ds_load_2addr_b64 v[72:75], v138 offset0:202 offset1:253
	s_wait_dscnt 0x0
	v_mul_f32_e32 v80, v75, v57
	v_dual_mul_f32 v187, v74, v57 :: v_dual_mul_f32 v102, v72, v79
	v_fma_f32 v188, v74, v56, -v80
	s_delay_alu instid0(VALU_DEP_2) | instskip(NEXT) | instid1(VALU_DEP_3)
	v_dual_mul_f32 v74, v73, v79 :: v_dual_fmac_f32 v187, v75, v56
	v_fmac_f32_e32 v102, v73, v78
	s_delay_alu instid0(VALU_DEP_2)
	v_fma_f32 v105, v72, v78, -v74
	ds_load_2addr_b64 v[72:75], v157 offset0:48 offset1:99
	s_wait_dscnt 0x0
	v_mul_f32_e32 v80, v73, v57
	v_mul_f32_e32 v130, v72, v57
	s_wait_loadcnt 0x0
	v_mul_f32_e32 v99, v74, v61
	s_delay_alu instid0(VALU_DEP_3) | instskip(SKIP_2) | instid1(VALU_DEP_4)
	v_fma_f32 v131, v72, v56, -v80
	v_mul_f32_e32 v72, v75, v61
	v_fmac_f32_e32 v130, v73, v56
	v_fmac_f32_e32 v99, v75, v60
	s_delay_alu instid0(VALU_DEP_3)
	v_fma_f32 v103, v74, v60, -v72
	ds_load_2addr_b64 v[72:75], v158 offset0:124 offset1:175
	s_wait_dscnt 0x0
	v_mul_f32_e32 v80, v75, v53
	v_mul_f32_e32 v189, v74, v53
	;; [unrolled: 1-line block ×3, first 2 shown]
	s_delay_alu instid0(VALU_DEP_3) | instskip(NEXT) | instid1(VALU_DEP_3)
	v_fma_f32 v190, v74, v52, -v80
	v_dual_mul_f32 v74, v73, v63 :: v_dual_fmac_f32 v189, v75, v52
	s_delay_alu instid0(VALU_DEP_3) | instskip(NEXT) | instid1(VALU_DEP_2)
	v_fmac_f32_e32 v107, v73, v62
	v_fma_f32 v110, v72, v62, -v74
	v_mul_f32_e32 v72, v83, v53
	s_delay_alu instid0(VALU_DEP_1)
	v_fma_f32 v135, v82, v52, -v72
	s_clause 0x1
	global_load_b128 v[80:83], v[86:87], off offset:320
	global_load_b128 v[72:75], v[86:87], off offset:336
	ds_load_2addr_b64 v[244:247], v239 offset1:51
	s_wait_loadcnt 0x1
	v_mul_f32_e32 v86, v85, v81
	v_mul_f32_e32 v111, v84, v81
	s_delay_alu instid0(VALU_DEP_2) | instskip(NEXT) | instid1(VALU_DEP_2)
	v_fma_f32 v112, v84, v80, -v86
	v_fmac_f32_e32 v111, v85, v80
	ds_load_2addr_b64 v[84:87], v156 offset0:46 offset1:97
	s_wait_dscnt 0x0
	v_mul_f32_e32 v113, v87, v69
	v_mul_f32_e32 v178, v86, v69
	s_delay_alu instid0(VALU_DEP_2) | instskip(SKIP_1) | instid1(VALU_DEP_3)
	v_fma_f32 v177, v86, v68, -v113
	v_mul_f32_e32 v86, v85, v83
	v_dual_mul_f32 v113, v84, v83 :: v_dual_fmac_f32 v178, v87, v68
	s_delay_alu instid0(VALU_DEP_2) | instskip(NEXT) | instid1(VALU_DEP_2)
	v_fma_f32 v114, v84, v82, -v86
	v_fmac_f32_e32 v113, v85, v82
	ds_load_2addr_b64 v[84:87], v156 offset0:148 offset1:199
	s_wait_dscnt 0x0
	v_mul_f32_e32 v115, v85, v69
	v_mul_f32_e32 v136, v84, v69
	s_delay_alu instid0(VALU_DEP_2) | instskip(SKIP_2) | instid1(VALU_DEP_3)
	v_fma_f32 v137, v84, v68, -v115
	s_wait_loadcnt 0x0
	v_mul_f32_e32 v84, v87, v73
	v_dual_mul_f32 v115, v86, v73 :: v_dual_fmac_f32 v136, v85, v68
	s_delay_alu instid0(VALU_DEP_2) | instskip(NEXT) | instid1(VALU_DEP_2)
	v_fma_f32 v118, v86, v72, -v84
	v_fmac_f32_e32 v115, v87, v72
	ds_load_2addr_b64 v[84:87], v239 offset0:102 offset1:153
	s_wait_dscnt 0x0
	v_mul_f32_e32 v142, v86, v45
	s_delay_alu instid0(VALU_DEP_1) | instskip(SKIP_1) | instid1(VALU_DEP_2)
	v_fmac_f32_e32 v142, v87, v44
	v_mul_f32_e32 v87, v87, v45
	v_add_f32_e32 v161, v142, v89
	s_delay_alu instid0(VALU_DEP_2) | instskip(SKIP_1) | instid1(VALU_DEP_2)
	v_fma_f32 v86, v86, v44, -v87
	v_sub_f32_e32 v87, v142, v89
	v_dual_add_f32 v253, v245, v142 :: v_dual_add_f32 v152, v86, v88
	s_delay_alu instid0(VALU_DEP_2)
	v_mul_f32_e32 v146, 0xbf0a6770, v87
	v_mul_f32_e32 v145, 0xbf68dda4, v87
	;; [unrolled: 1-line block ×5, first 2 shown]
	v_fma_f32 v147, 0x3f575c64, v152, -v146
	v_fmac_f32_e32 v146, 0x3f575c64, v152
	v_fma_f32 v148, 0x3ed4b147, v152, -v145
	v_fmac_f32_e32 v145, 0x3ed4b147, v152
	;; [unrolled: 2-line block ×5, first 2 shown]
	v_dual_sub_f32 v152, v86, v88 :: v_dual_add_f32 v173, v244, v145
	v_add_f32_e32 v197, v244, v150
	s_delay_alu instid0(VALU_DEP_4) | instskip(NEXT) | instid1(VALU_DEP_4)
	v_add_f32_e32 v195, v244, v151
	v_add_f32_e32 v183, v244, v87
	s_delay_alu instid0(VALU_DEP_4) | instskip(SKIP_2) | instid1(VALU_DEP_3)
	v_mul_f32_e32 v153, 0xbf0a6770, v152
	v_mul_f32_e32 v155, 0xbf7d64f0, v152
	v_dual_mul_f32 v160, 0xbf4178ce, v152 :: v_dual_add_f32 v87, v253, v90
	v_dual_add_f32 v243, v244, v149 :: v_dual_fmamk_f32 v162, v161, 0x3f575c64, v153
	v_fma_f32 v153, 0x3f575c64, v161, -v153
	s_delay_alu instid0(VALU_DEP_4)
	v_fmamk_f32 v170, v161, 0xbe11bafb, v155
	v_fma_f32 v155, 0xbe11bafb, v161, -v155
	v_fmamk_f32 v174, v161, 0xbf27a4f4, v160
	v_add_f32_e32 v242, v245, v162
	v_mul_f32_e32 v154, 0xbf68dda4, v152
	v_mul_f32_e32 v152, 0xbe903f40, v152
	v_fma_f32 v160, 0xbf27a4f4, v161, -v160
	v_add_f32_e32 v198, v245, v170
	v_add_f32_e32 v170, v245, v155
	v_fmamk_f32 v163, v161, 0x3ed4b147, v154
	v_fma_f32 v154, 0x3ed4b147, v161, -v154
	v_fmamk_f32 v182, v161, 0xbf75a155, v152
	v_fma_f32 v152, 0xbf75a155, v161, -v152
	v_sub_f32_e32 v161, v141, v133
	v_add_f32_e32 v249, v245, v163
	v_add_f32_e32 v172, v245, v154
	;; [unrolled: 1-line block ×4, first 2 shown]
	v_mul_f32_e32 v193, 0xbf0a6770, v161
	v_mul_f32_e32 v199, 0xbf68dda4, v161
	;; [unrolled: 1-line block ×4, first 2 shown]
	v_dual_mul_f32 v204, 0xbe903f40, v161 :: v_dual_add_f32 v161, v140, v132
	v_add_f32_e32 v194, v245, v182
	v_dual_add_f32 v182, v245, v152 :: v_dual_add_f32 v87, v87, v185
	v_add_f32_e32 v174, v91, v177
	s_delay_alu instid0(VALU_DEP_4)
	v_fma_f32 v205, 0x3f575c64, v161, -v193
	v_fmac_f32_e32 v193, 0x3f575c64, v161
	v_fma_f32 v206, 0x3ed4b147, v161, -v199
	v_fmac_f32_e32 v199, 0x3ed4b147, v161
	;; [unrolled: 2-line block ×4, first 2 shown]
	v_fma_f32 v209, 0xbf75a155, v161, -v204
	v_dual_fmac_f32 v204, 0xbf75a155, v161 :: v_dual_sub_f32 v161, v140, v132
	v_add_f32_e32 v87, v87, v176
	s_delay_alu instid0(VALU_DEP_4) | instskip(NEXT) | instid1(VALU_DEP_4)
	v_add_f32_e32 v145, v246, v203
	v_add_f32_e32 v151, v246, v209
	;; [unrolled: 1-line block ×3, first 2 shown]
	v_mul_f32_e32 v167, 0xbf4178ce, v161
	v_dual_add_f32 v87, v87, v187 :: v_dual_mul_f32 v164, 0xbf0a6770, v161
	v_mul_f32_e32 v165, 0xbf68dda4, v161
	v_mul_f32_e32 v166, 0xbf7d64f0, v161
	s_delay_alu instid0(VALU_DEP_4)
	v_fmamk_f32 v216, v171, 0xbf27a4f4, v167
	v_fma_f32 v240, 0xbf27a4f4, v171, -v167
	v_add_f32_e32 v167, v245, v153
	v_dual_sub_f32 v245, v91, v177 :: v_dual_add_f32 v86, v244, v86
	v_mul_f32_e32 v161, 0xbe903f40, v161
	v_add_f32_e32 v87, v87, v180
	v_fmamk_f32 v210, v171, 0x3f575c64, v164
	s_delay_alu instid0(VALU_DEP_4)
	v_dual_mul_f32 v203, 0xbf4178ce, v245 :: v_dual_add_f32 v86, v86, v91
	v_fma_f32 v211, 0x3f575c64, v171, -v164
	v_fmamk_f32 v212, v171, 0x3ed4b147, v165
	v_fma_f32 v213, 0x3ed4b147, v171, -v165
	v_fma_f32 v215, 0xbe11bafb, v171, -v166
	v_add_f32_e32 v86, v86, v186
	v_fmamk_f32 v248, v171, 0xbf75a155, v161
	v_fma_f32 v252, 0xbf75a155, v171, -v161
	v_dual_add_f32 v87, v87, v189 :: v_dual_add_f32 v164, v246, v140
	s_delay_alu instid0(VALU_DEP_4) | instskip(NEXT) | instid1(VALU_DEP_4)
	v_add_f32_e32 v86, v86, v179
	v_add_f32_e32 v150, v247, v248
	v_add_f32_e32 v165, v247, v141
	s_delay_alu instid0(VALU_DEP_4) | instskip(NEXT) | instid1(VALU_DEP_4)
	v_dual_add_f32 v87, v87, v175 :: v_dual_add_f32 v250, v244, v148
	v_add_f32_e32 v86, v86, v188
	v_add_f32_e32 v162, v247, v210
	v_dual_add_f32 v161, v246, v206 :: v_dual_add_f32 v160, v247, v212
	s_delay_alu instid0(VALU_DEP_3)
	v_dual_add_f32 v141, v247, v213 :: v_dual_add_f32 v86, v86, v184
	v_add_f32_e32 v155, v246, v207
	v_add_f32_e32 v153, v246, v208
	;; [unrolled: 1-line block ×4, first 2 shown]
	v_dual_add_f32 v86, v86, v190 :: v_dual_mul_f32 v205, 0x3e903f40, v255
	s_delay_alu instid0(VALU_DEP_2) | instskip(NEXT) | instid1(VALU_DEP_2)
	v_add_f32_e32 v89, v87, v89
	v_add_f32_e32 v86, v86, v181
	s_delay_alu instid0(VALU_DEP_1)
	v_add_f32_e32 v86, v86, v177
	v_dual_add_f32 v177, v90, v178 :: v_dual_fmamk_f32 v214, v171, 0xbe11bafb, v166
	v_add_f32_e32 v171, v244, v144
	v_add_f32_e32 v144, v247, v240
	v_sub_f32_e32 v240, v188, v184
	v_add_f32_e32 v254, v244, v147
	v_add_f32_e32 v140, v246, v199
	v_add_f32_e32 v154, v247, v214
	v_add_f32_e32 v147, v246, v202
	v_dual_mul_f32 v209, 0x3f0a6770, v240 :: v_dual_sub_f32 v248, v90, v178
	v_add_f32_e32 v152, v247, v216
	v_dual_add_f32 v178, v186, v181 :: v_dual_add_f32 v181, v185, v175
	v_dual_add_f32 v192, v244, v143 :: v_dual_add_f32 v143, v246, v193
	v_sub_f32_e32 v199, v179, v190
	v_add_f32_e32 v166, v244, v146
	v_add_f32_e32 v146, v247, v215
	;; [unrolled: 1-line block ×3, first 2 shown]
	v_sub_f32_e32 v246, v176, v189
	v_add_f32_e32 v142, v247, v211
	v_sub_f32_e32 v247, v185, v175
	v_add_f32_e32 v175, v179, v190
	v_add_f32_e32 v179, v176, v189
	;; [unrolled: 1-line block ×3, first 2 shown]
	v_mul_f32_e32 v184, 0xbf68dda4, v248
	v_add_f32_e32 v88, v86, v88
	v_mul_f32_e32 v186, 0xbf68dda4, v245
	v_mul_f32_e32 v185, 0xbf7d64f0, v247
	;; [unrolled: 1-line block ×3, first 2 shown]
	v_fma_f32 v86, 0x3ed4b147, v174, -v184
	s_delay_alu instid0(VALU_DEP_4) | instskip(NEXT) | instid1(VALU_DEP_4)
	v_dual_sub_f32 v244, v187, v180 :: v_dual_fmamk_f32 v87, v177, 0x3ed4b147, v186
	v_fma_f32 v90, 0xbe11bafb, v178, -v185
	v_add_f32_e32 v180, v187, v180
	s_delay_alu instid0(VALU_DEP_4) | instskip(SKIP_3) | instid1(VALU_DEP_4)
	v_add_f32_e32 v86, v86, v254
	v_mul_f32_e32 v187, 0xbf4178ce, v246
	v_dual_add_f32 v87, v87, v242 :: v_dual_mul_f32 v190, 0xbf4178ce, v199
	v_mul_f32_e32 v188, 0xbe903f40, v244
	v_add_f32_e32 v86, v90, v86
	v_fmamk_f32 v90, v181, 0xbe11bafb, v189
	v_mul_f32_e32 v193, 0xbe903f40, v240
	v_mul_f32_e32 v202, 0xbf4178ce, v248
	v_dual_mul_f32 v204, 0x3e903f40, v247 :: v_dual_mul_f32 v211, 0x3e903f40, v245
	s_delay_alu instid0(VALU_DEP_4) | instskip(SKIP_4) | instid1(VALU_DEP_4)
	v_add_f32_e32 v87, v90, v87
	v_fma_f32 v90, 0xbf27a4f4, v175, -v187
	v_fmac_f32_e32 v187, 0xbf27a4f4, v175
	v_dual_mul_f32 v206, 0x3f7d64f0, v246 :: v_dual_mul_f32 v207, 0x3f7d64f0, v199
	v_mul_f32_e32 v208, 0x3f0a6770, v244
	v_add_f32_e32 v86, v90, v86
	v_fmamk_f32 v90, v179, 0xbf27a4f4, v190
	v_mul_f32_e32 v210, 0x3e903f40, v248
	v_mul_f32_e32 v252, 0x3f68dda4, v244
	;; [unrolled: 1-line block ×3, first 2 shown]
	s_delay_alu instid0(VALU_DEP_4) | instskip(SKIP_1) | instid1(VALU_DEP_1)
	v_add_f32_e32 v87, v90, v87
	v_fma_f32 v90, 0xbf75a155, v176, -v188
	v_add_f32_e32 v90, v90, v86
	v_fmamk_f32 v86, v180, 0xbf75a155, v193
	s_delay_alu instid0(VALU_DEP_1)
	v_add_f32_e32 v91, v86, v87
	ds_load_b64 v[86:87], v239 offset:13056
	global_wb scope:SCOPE_SE
	s_wait_dscnt 0x0
	s_barrier_signal -1
	s_barrier_wait -1
	global_inv scope:SCOPE_SE
	ds_store_2addr_b64 v239, v[88:89], v[90:91] offset1:51
	v_fma_f32 v88, 0xbf27a4f4, v174, -v202
	v_fmamk_f32 v89, v177, 0xbf27a4f4, v203
	v_fma_f32 v90, 0xbf75a155, v178, -v204
	v_fmamk_f32 v91, v177, 0xbf75a155, v211
	scratch_store_b32 off, v0, off offset:260 ; 4-byte Folded Spill
	v_dual_add_f32 v88, v88, v250 :: v_dual_add_f32 v89, v89, v249
	v_mul_f32_e32 v249, 0xbe903f40, v246
	v_dual_add_f32 v91, v91, v198 :: v_dual_mul_f32 v198, 0x3f68dda4, v247
	s_delay_alu instid0(VALU_DEP_3) | instskip(SKIP_2) | instid1(VALU_DEP_4)
	v_add_f32_e32 v88, v90, v88
	v_fmamk_f32 v90, v181, 0xbf75a155, v205
	v_mul_f32_e32 v250, 0xbe903f40, v199
	v_fma_f32 v212, 0x3ed4b147, v178, -v198
	s_delay_alu instid0(VALU_DEP_3) | instskip(SKIP_2) | instid1(VALU_DEP_2)
	v_add_f32_e32 v89, v90, v89
	v_fma_f32 v90, 0xbe11bafb, v175, -v206
	v_fmac_f32_e32 v206, 0xbe11bafb, v175
	v_add_f32_e32 v88, v90, v88
	v_fmamk_f32 v90, v179, 0xbe11bafb, v207
	s_delay_alu instid0(VALU_DEP_1) | instskip(SKIP_1) | instid1(VALU_DEP_1)
	v_add_f32_e32 v89, v90, v89
	v_fma_f32 v90, 0x3f575c64, v176, -v208
	v_add_f32_e32 v88, v90, v88
	v_fmamk_f32 v90, v180, 0x3f575c64, v209
	s_delay_alu instid0(VALU_DEP_1) | instskip(SKIP_1) | instid1(VALU_DEP_1)
	v_add_f32_e32 v89, v90, v89
	v_fma_f32 v90, 0xbf75a155, v174, -v210
	v_add_f32_e32 v90, v90, v243
	s_delay_alu instid0(VALU_DEP_1) | instskip(SKIP_1) | instid1(VALU_DEP_1)
	v_dual_mul_f32 v243, 0xbf0a6770, v255 :: v_dual_add_f32 v90, v212, v90
	v_mul_f32_e32 v212, 0x3f68dda4, v255
	v_fmamk_f32 v213, v181, 0x3ed4b147, v212
	s_delay_alu instid0(VALU_DEP_1) | instskip(SKIP_2) | instid1(VALU_DEP_2)
	v_add_f32_e32 v91, v213, v91
	v_mul_f32_e32 v213, 0xbf0a6770, v246
	v_mul_f32_e32 v246, 0x3f68dda4, v246
	v_fma_f32 v214, 0x3f575c64, v175, -v213
	s_delay_alu instid0(VALU_DEP_1) | instskip(SKIP_2) | instid1(VALU_DEP_2)
	v_dual_fmac_f32 v213, 0x3f575c64, v175 :: v_dual_add_f32 v90, v214, v90
	v_mul_f32_e32 v214, 0xbf0a6770, v199
	v_mul_f32_e32 v199, 0x3f68dda4, v199
	v_fmamk_f32 v215, v179, 0x3f575c64, v214
	s_delay_alu instid0(VALU_DEP_1) | instskip(SKIP_2) | instid1(VALU_DEP_2)
	v_add_f32_e32 v91, v215, v91
	v_mul_f32_e32 v215, 0xbf4178ce, v244
	v_mul_f32_e32 v244, 0xbf7d64f0, v244
	v_fma_f32 v216, 0xbf27a4f4, v176, -v215
	s_delay_alu instid0(VALU_DEP_1) | instskip(SKIP_2) | instid1(VALU_DEP_2)
	v_add_f32_e32 v90, v216, v90
	v_mul_f32_e32 v216, 0xbf4178ce, v240
	v_mul_f32_e32 v240, 0xbf7d64f0, v240
	v_fmamk_f32 v242, v180, 0xbf27a4f4, v216
	s_delay_alu instid0(VALU_DEP_1) | instskip(SKIP_3) | instid1(VALU_DEP_1)
	v_dual_add_f32 v91, v242, v91 :: v_dual_mul_f32 v242, 0x3f7d64f0, v248
	v_mul_f32_e32 v248, 0x3f0a6770, v248
	ds_store_2addr_b64 v239, v[88:89], v[90:91] offset0:102 offset1:153
	v_fma_f32 v88, 0xbe11bafb, v174, -v242
	v_add_f32_e32 v88, v88, v197
	v_mul_f32_e32 v197, 0x3f7d64f0, v245
	s_delay_alu instid0(VALU_DEP_1) | instskip(NEXT) | instid1(VALU_DEP_1)
	v_fmamk_f32 v89, v177, 0xbe11bafb, v197
	v_dual_add_f32 v89, v89, v196 :: v_dual_mul_f32 v196, 0xbf0a6770, v247
	s_delay_alu instid0(VALU_DEP_1) | instskip(NEXT) | instid1(VALU_DEP_1)
	v_fma_f32 v90, 0x3f575c64, v178, -v196
	v_add_f32_e32 v88, v90, v88
	v_fmamk_f32 v90, v181, 0x3f575c64, v243
	s_delay_alu instid0(VALU_DEP_1) | instskip(SKIP_1) | instid1(VALU_DEP_1)
	v_add_f32_e32 v89, v90, v89
	v_fma_f32 v90, 0xbf75a155, v175, -v249
	v_dual_fmac_f32 v249, 0xbf75a155, v175 :: v_dual_add_f32 v88, v90, v88
	v_fmamk_f32 v90, v179, 0xbf75a155, v250
	s_delay_alu instid0(VALU_DEP_1) | instskip(SKIP_1) | instid1(VALU_DEP_1)
	v_add_f32_e32 v89, v90, v89
	v_fma_f32 v90, 0x3ed4b147, v176, -v252
	v_add_f32_e32 v88, v90, v88
	v_fmamk_f32 v90, v180, 0x3ed4b147, v253
	s_delay_alu instid0(VALU_DEP_1) | instskip(SKIP_1) | instid1(VALU_DEP_1)
	v_add_f32_e32 v89, v90, v89
	v_fma_f32 v90, 0x3f575c64, v174, -v248
	v_dual_add_f32 v90, v90, v195 :: v_dual_mul_f32 v195, 0x3f0a6770, v245
	s_delay_alu instid0(VALU_DEP_1) | instskip(NEXT) | instid1(VALU_DEP_1)
	v_dual_fmamk_f32 v91, v177, 0x3f575c64, v195 :: v_dual_fmac_f32 v196, 0x3f575c64, v178
	v_dual_add_f32 v91, v91, v194 :: v_dual_mul_f32 v194, 0xbf4178ce, v247
	s_delay_alu instid0(VALU_DEP_1) | instskip(SKIP_1) | instid1(VALU_DEP_2)
	v_fma_f32 v245, 0xbf27a4f4, v178, -v194
	v_fmac_f32_e32 v194, 0xbf27a4f4, v178
	v_dual_add_f32 v90, v245, v90 :: v_dual_mul_f32 v245, 0xbf4178ce, v255
	s_delay_alu instid0(VALU_DEP_1) | instskip(NEXT) | instid1(VALU_DEP_1)
	v_fmamk_f32 v247, v181, 0xbf27a4f4, v245
	v_add_f32_e32 v91, v247, v91
	v_fma_f32 v247, 0x3ed4b147, v175, -v246
	v_fmac_f32_e32 v246, 0x3ed4b147, v175
	s_delay_alu instid0(VALU_DEP_2) | instskip(SKIP_1) | instid1(VALU_DEP_1)
	v_add_f32_e32 v90, v247, v90
	v_fmamk_f32 v247, v179, 0x3ed4b147, v199
	v_add_f32_e32 v91, v247, v91
	v_fma_f32 v247, 0xbe11bafb, v176, -v244
	s_delay_alu instid0(VALU_DEP_1) | instskip(NEXT) | instid1(VALU_DEP_1)
	v_dual_add_f32 v90, v247, v90 :: v_dual_fmamk_f32 v247, v180, 0xbe11bafb, v240
	v_add_f32_e32 v91, v247, v91
	ds_store_2addr_b64 v239, v[88:89], v[90:91] offset0:204 offset1:255
	v_fma_f32 v91, 0x3f575c64, v177, -v195
	v_fma_f32 v89, 0xbe11bafb, v177, -v197
	;; [unrolled: 1-line block ×3, first 2 shown]
	s_delay_alu instid0(VALU_DEP_3) | instskip(SKIP_1) | instid1(VALU_DEP_4)
	v_add_f32_e32 v91, v91, v182
	v_fma_f32 v182, 0xbf27a4f4, v181, -v245
	v_add_f32_e32 v89, v89, v191
	s_delay_alu instid0(VALU_DEP_2) | instskip(SKIP_1) | instid1(VALU_DEP_3)
	v_add_f32_e32 v91, v182, v91
	v_fma_f32 v182, 0x3ed4b147, v179, -v199
	v_add_f32_e32 v89, v90, v89
	v_fma_f32 v90, 0xbf75a155, v179, -v250
	v_fmac_f32_e32 v242, 0xbe11bafb, v174
	s_delay_alu instid0(VALU_DEP_4) | instskip(SKIP_1) | instid1(VALU_DEP_4)
	v_dual_fmac_f32 v248, 0x3f575c64, v174 :: v_dual_add_f32 v91, v182, v91
	v_fma_f32 v182, 0xbe11bafb, v180, -v240
	v_add_f32_e32 v89, v90, v89
	s_delay_alu instid0(VALU_DEP_4) | instskip(SKIP_1) | instid1(VALU_DEP_4)
	v_add_f32_e32 v88, v242, v192
	v_fmac_f32_e32 v252, 0x3ed4b147, v176
	v_dual_fmac_f32 v244, 0xbe11bafb, v176 :: v_dual_add_f32 v91, v182, v91
	v_fma_f32 v90, 0x3ed4b147, v180, -v253
	s_delay_alu instid0(VALU_DEP_4) | instskip(SKIP_2) | instid1(VALU_DEP_4)
	v_add_f32_e32 v88, v196, v88
	v_fmac_f32_e32 v202, 0xbf27a4f4, v174
	v_fmac_f32_e32 v210, 0xbf75a155, v174
	v_dual_fmac_f32 v208, 0x3f575c64, v176 :: v_dual_add_f32 v89, v90, v89
	v_add_f32_e32 v90, v248, v183
	v_add_f32_e32 v88, v249, v88
	s_delay_alu instid0(VALU_DEP_2) | instskip(NEXT) | instid1(VALU_DEP_2)
	v_dual_fmac_f32 v215, 0xbf27a4f4, v176 :: v_dual_add_f32 v90, v194, v90
	v_add_f32_e32 v88, v252, v88
	s_delay_alu instid0(VALU_DEP_2) | instskip(NEXT) | instid1(VALU_DEP_1)
	v_add_f32_e32 v90, v246, v90
	v_add_f32_e32 v90, v244, v90
	ds_store_2addr_b64 v169, v[90:91], v[88:89] offset0:50 offset1:101
	v_fma_f32 v89, 0xbf27a4f4, v177, -v203
	v_fma_f32 v90, 0xbf75a155, v181, -v205
	;; [unrolled: 1-line block ×3, first 2 shown]
	s_delay_alu instid0(VALU_DEP_3) | instskip(NEXT) | instid1(VALU_DEP_2)
	v_dual_add_f32 v88, v202, v173 :: v_dual_add_f32 v89, v89, v172
	v_add_f32_e32 v91, v91, v170
	v_fmac_f32_e32 v204, 0xbf75a155, v178
	s_delay_alu instid0(VALU_DEP_3) | instskip(SKIP_2) | instid1(VALU_DEP_4)
	v_dual_fmac_f32 v198, 0x3ed4b147, v178 :: v_dual_add_f32 v89, v90, v89
	v_fma_f32 v90, 0xbe11bafb, v179, -v207
	v_fma_f32 v170, 0x3ed4b147, v181, -v212
	v_add_f32_e32 v88, v204, v88
	v_fmac_f32_e32 v184, 0x3ed4b147, v174
	v_fmac_f32_e32 v185, 0xbe11bafb, v178
	v_add_f32_e32 v89, v90, v89
	v_fma_f32 v90, 0x3f575c64, v180, -v209
	v_add_f32_e32 v91, v170, v91
	v_fma_f32 v170, 0x3f575c64, v179, -v214
	v_add_f32_e32 v88, v206, v88
	s_delay_alu instid0(VALU_DEP_4) | instskip(SKIP_1) | instid1(VALU_DEP_4)
	v_add_f32_e32 v89, v90, v89
	v_add_f32_e32 v90, v210, v171
	;; [unrolled: 1-line block ×3, first 2 shown]
	v_fma_f32 v170, 0xbf27a4f4, v180, -v216
	v_add_f32_e32 v88, v208, v88
	v_fmac_f32_e32 v188, 0xbf75a155, v176
	v_add_f32_e32 v90, v198, v90
	s_delay_alu instid0(VALU_DEP_1) | instskip(NEXT) | instid1(VALU_DEP_1)
	v_dual_add_f32 v91, v170, v91 :: v_dual_add_f32 v90, v213, v90
	v_add_f32_e32 v90, v215, v90
	ds_store_2addr_b64 v169, v[90:91], v[88:89] offset0:152 offset1:203
	v_fma_f32 v88, 0x3ed4b147, v177, -v186
	v_add_f32_e32 v90, v184, v166
	v_fma_f32 v89, 0xbe11bafb, v181, -v189
	v_add_f32_e32 v166, v131, v125
	;; [unrolled: 2-line block ×3, first 2 shown]
	v_add_f32_e32 v90, v185, v90
	s_delay_alu instid0(VALU_DEP_2) | instskip(SKIP_1) | instid1(VALU_DEP_1)
	v_add_f32_e32 v88, v89, v88
	v_fma_f32 v89, 0xbf27a4f4, v179, -v190
	v_dual_add_f32 v90, v187, v90 :: v_dual_add_f32 v89, v89, v88
	s_delay_alu instid0(VALU_DEP_1) | instskip(SKIP_1) | instid1(VALU_DEP_3)
	v_add_f32_e32 v88, v188, v90
	v_add_f32_e32 v90, v164, v122
	v_dual_add_f32 v164, v120, v135 :: v_dual_add_f32 v89, v91, v89
	v_add_f32_e32 v91, v165, v121
	s_delay_alu instid0(VALU_DEP_1) | instskip(NEXT) | instid1(VALU_DEP_1)
	v_dual_add_f32 v90, v90, v129 :: v_dual_add_f32 v91, v91, v128
	v_add_f32_e32 v90, v90, v120
	v_sub_f32_e32 v120, v120, v135
	s_delay_alu instid0(VALU_DEP_3) | instskip(NEXT) | instid1(VALU_DEP_2)
	v_add_f32_e32 v91, v91, v119
	v_dual_add_f32 v90, v90, v131 :: v_dual_mul_f32 v165, 0xbf4178ce, v120
	v_mul_f32_e32 v179, 0xbf0a6770, v120
	s_delay_alu instid0(VALU_DEP_2) | instskip(SKIP_2) | instid1(VALU_DEP_3)
	v_dual_add_f32 v91, v91, v130 :: v_dual_add_f32 v90, v90, v125
	v_sub_f32_e32 v125, v131, v125
	v_sub_f32_e32 v131, v130, v123
	v_add_f32_e32 v91, v91, v123
	s_delay_alu instid0(VALU_DEP_4) | instskip(SKIP_2) | instid1(VALU_DEP_3)
	v_dual_add_f32 v90, v90, v135 :: v_dual_sub_f32 v135, v119, v134
	v_add_f32_e32 v119, v119, v134
	v_add_f32_e32 v123, v130, v123
	v_dual_add_f32 v91, v91, v134 :: v_dual_add_f32 v90, v90, v127
	s_delay_alu instid0(VALU_DEP_4) | instskip(SKIP_1) | instid1(VALU_DEP_3)
	v_mul_f32_e32 v134, 0xbf4178ce, v135
	v_dual_mul_f32 v130, 0xbe903f40, v131 :: v_dual_mul_f32 v167, 0xbe903f40, v125
	v_dual_add_f32 v91, v91, v126 :: v_dual_add_f32 v90, v90, v137
	v_mul_f32_e32 v178, 0xbf0a6770, v135
	v_dual_mul_f32 v180, 0xbf4178ce, v131 :: v_dual_mul_f32 v181, 0xbf4178ce, v125
	s_delay_alu instid0(VALU_DEP_3) | instskip(NEXT) | instid1(VALU_DEP_4)
	v_add_f32_e32 v91, v91, v136
	v_add_f32_e32 v90, v90, v132
	;; [unrolled: 1-line block ×3, first 2 shown]
	v_sub_f32_e32 v122, v122, v137
	s_delay_alu instid0(VALU_DEP_4) | instskip(SKIP_2) | instid1(VALU_DEP_4)
	v_add_f32_e32 v91, v91, v133
	v_sub_f32_e32 v133, v121, v136
	v_add_f32_e32 v121, v121, v136
	v_mul_f32_e32 v137, 0xbf68dda4, v122
	ds_store_2addr_b64 v168, v[88:89], v[90:91] offset0:126 offset1:177
	v_mul_f32_e32 v136, 0xbf68dda4, v133
	v_mul_f32_e32 v170, 0xbf4178ce, v133
	v_fmamk_f32 v89, v121, 0x3ed4b147, v137
	v_mul_f32_e32 v182, 0x3f7d64f0, v133
	s_delay_alu instid0(VALU_DEP_4) | instskip(NEXT) | instid1(VALU_DEP_3)
	v_fma_f32 v88, 0x3ed4b147, v132, -v136
	v_add_f32_e32 v89, v89, v162
	v_sub_f32_e32 v162, v129, v127
	v_add_f32_e32 v127, v129, v127
	v_sub_f32_e32 v129, v128, v126
	v_add_f32_e32 v126, v128, v126
	s_delay_alu instid0(VALU_DEP_4) | instskip(SKIP_1) | instid1(VALU_DEP_4)
	v_dual_add_f32 v88, v88, v163 :: v_dual_mul_f32 v163, 0xbf7d64f0, v162
	v_mul_f32_e32 v177, 0x3f68dda4, v162
	v_mul_f32_e32 v128, 0xbf7d64f0, v129
	s_delay_alu instid0(VALU_DEP_1) | instskip(SKIP_1) | instid1(VALU_DEP_2)
	v_fma_f32 v90, 0xbe11bafb, v127, -v128
	v_fmac_f32_e32 v128, 0xbe11bafb, v127
	v_add_f32_e32 v88, v90, v88
	v_fmamk_f32 v90, v126, 0xbe11bafb, v163
	s_delay_alu instid0(VALU_DEP_1) | instskip(SKIP_1) | instid1(VALU_DEP_1)
	v_add_f32_e32 v89, v90, v89
	v_fma_f32 v90, 0xbf27a4f4, v164, -v134
	v_add_f32_e32 v88, v90, v88
	v_fmamk_f32 v90, v119, 0xbf27a4f4, v165
	s_delay_alu instid0(VALU_DEP_1) | instskip(SKIP_1) | instid1(VALU_DEP_1)
	v_add_f32_e32 v89, v90, v89
	v_fma_f32 v90, 0xbf75a155, v166, -v130
	;; [unrolled: 5-line block ×3, first 2 shown]
	v_dual_add_f32 v90, v90, v161 :: v_dual_mul_f32 v161, 0xbf4178ce, v122
	s_delay_alu instid0(VALU_DEP_1) | instskip(NEXT) | instid1(VALU_DEP_1)
	v_fmamk_f32 v91, v121, 0xbf27a4f4, v161
	v_dual_add_f32 v91, v91, v160 :: v_dual_mul_f32 v160, 0x3e903f40, v129
	s_delay_alu instid0(VALU_DEP_1) | instskip(SKIP_1) | instid1(VALU_DEP_2)
	v_fma_f32 v171, 0xbf75a155, v127, -v160
	v_fmac_f32_e32 v160, 0xbf75a155, v127
	v_add_f32_e32 v90, v171, v90
	v_mul_f32_e32 v171, 0x3e903f40, v162
	s_delay_alu instid0(VALU_DEP_1) | instskip(NEXT) | instid1(VALU_DEP_1)
	v_fmamk_f32 v172, v126, 0xbf75a155, v171
	v_add_f32_e32 v91, v172, v91
	v_mul_f32_e32 v172, 0x3f7d64f0, v135
	s_delay_alu instid0(VALU_DEP_1) | instskip(NEXT) | instid1(VALU_DEP_1)
	v_fma_f32 v173, 0xbe11bafb, v164, -v172
	v_dual_add_f32 v90, v173, v90 :: v_dual_mul_f32 v173, 0x3f7d64f0, v120
	s_delay_alu instid0(VALU_DEP_1) | instskip(NEXT) | instid1(VALU_DEP_1)
	v_fmamk_f32 v174, v119, 0xbe11bafb, v173
	v_add_f32_e32 v91, v174, v91
	v_mul_f32_e32 v174, 0x3f0a6770, v131
	s_delay_alu instid0(VALU_DEP_1) | instskip(SKIP_1) | instid1(VALU_DEP_2)
	v_fma_f32 v175, 0x3f575c64, v166, -v174
	v_fmac_f32_e32 v174, 0x3f575c64, v166
	v_dual_add_f32 v90, v175, v90 :: v_dual_mul_f32 v175, 0x3f0a6770, v125
	s_delay_alu instid0(VALU_DEP_1) | instskip(NEXT) | instid1(VALU_DEP_1)
	v_fmamk_f32 v176, v123, 0x3f575c64, v175
	v_dual_add_f32 v91, v176, v91 :: v_dual_mul_f32 v176, 0x3e903f40, v133
	ds_store_2addr_b64 v138, v[88:89], v[90:91] offset0:100 offset1:151
	v_fma_f32 v88, 0xbf75a155, v132, -v176
	v_fmac_f32_e32 v176, 0xbf75a155, v132
	s_delay_alu instid0(VALU_DEP_2) | instskip(NEXT) | instid1(VALU_DEP_1)
	v_dual_add_f32 v88, v88, v155 :: v_dual_mul_f32 v155, 0x3e903f40, v122
	v_fmamk_f32 v89, v121, 0xbf75a155, v155
	s_delay_alu instid0(VALU_DEP_1) | instskip(NEXT) | instid1(VALU_DEP_1)
	v_dual_add_f32 v89, v89, v154 :: v_dual_mul_f32 v154, 0x3f68dda4, v129
	v_fma_f32 v90, 0x3ed4b147, v127, -v154
	v_fmac_f32_e32 v154, 0x3ed4b147, v127
	s_delay_alu instid0(VALU_DEP_2) | instskip(SKIP_1) | instid1(VALU_DEP_1)
	v_add_f32_e32 v88, v90, v88
	v_fmamk_f32 v90, v126, 0x3ed4b147, v177
	v_add_f32_e32 v89, v90, v89
	v_fma_f32 v90, 0x3f575c64, v164, -v178
	v_fmac_f32_e32 v178, 0x3f575c64, v164
	s_delay_alu instid0(VALU_DEP_2) | instskip(SKIP_1) | instid1(VALU_DEP_1)
	v_add_f32_e32 v88, v90, v88
	v_fmamk_f32 v90, v119, 0x3f575c64, v179
	v_add_f32_e32 v89, v90, v89
	;; [unrolled: 6-line block ×3, first 2 shown]
	v_fma_f32 v90, 0xbe11bafb, v132, -v182
	v_fmac_f32_e32 v182, 0xbe11bafb, v132
	s_delay_alu instid0(VALU_DEP_2) | instskip(NEXT) | instid1(VALU_DEP_1)
	v_dual_add_f32 v90, v90, v153 :: v_dual_mul_f32 v153, 0x3f7d64f0, v122
	v_fmamk_f32 v91, v121, 0xbe11bafb, v153
	s_delay_alu instid0(VALU_DEP_1) | instskip(NEXT) | instid1(VALU_DEP_1)
	v_dual_add_f32 v91, v91, v152 :: v_dual_mul_f32 v152, 0xbf0a6770, v129
	v_fma_f32 v183, 0x3f575c64, v127, -v152
	v_fmac_f32_e32 v152, 0x3f575c64, v127
	s_delay_alu instid0(VALU_DEP_2) | instskip(SKIP_1) | instid1(VALU_DEP_1)
	v_add_f32_e32 v90, v183, v90
	v_mul_f32_e32 v183, 0xbf0a6770, v162
	v_fmamk_f32 v184, v126, 0x3f575c64, v183
	s_delay_alu instid0(VALU_DEP_1) | instskip(SKIP_1) | instid1(VALU_DEP_1)
	v_add_f32_e32 v91, v184, v91
	v_mul_f32_e32 v184, 0xbe903f40, v135
	v_fma_f32 v185, 0xbf75a155, v164, -v184
	v_fmac_f32_e32 v184, 0xbf75a155, v164
	s_delay_alu instid0(VALU_DEP_2) | instskip(SKIP_1) | instid1(VALU_DEP_2)
	v_dual_add_f32 v90, v185, v90 :: v_dual_mul_f32 v185, 0xbe903f40, v120
	v_mul_f32_e32 v120, 0x3f68dda4, v120
	v_fmamk_f32 v186, v119, 0xbf75a155, v185
	s_delay_alu instid0(VALU_DEP_1) | instskip(SKIP_2) | instid1(VALU_DEP_2)
	v_add_f32_e32 v91, v186, v91
	v_mul_f32_e32 v186, 0x3f68dda4, v131
	v_mul_f32_e32 v131, 0xbf7d64f0, v131
	v_fma_f32 v187, 0x3ed4b147, v166, -v186
	v_fmac_f32_e32 v186, 0x3ed4b147, v166
	s_delay_alu instid0(VALU_DEP_2) | instskip(SKIP_1) | instid1(VALU_DEP_2)
	v_dual_add_f32 v90, v187, v90 :: v_dual_mul_f32 v187, 0x3f68dda4, v125
	v_mul_f32_e32 v125, 0xbf7d64f0, v125
	v_fmamk_f32 v188, v123, 0x3ed4b147, v187
	s_delay_alu instid0(VALU_DEP_1) | instskip(SKIP_3) | instid1(VALU_DEP_2)
	v_add_f32_e32 v91, v188, v91
	ds_store_2addr_b64 v138, v[88:89], v[90:91] offset0:202 offset1:253
	v_dual_mul_f32 v90, 0x3f0a6770, v133 :: v_dual_mul_f32 v91, 0x3f0a6770, v122
	v_mul_f32_e32 v122, 0xbf4178ce, v129
	v_fma_f32 v88, 0x3f575c64, v132, -v90
	s_delay_alu instid0(VALU_DEP_3) | instskip(NEXT) | instid1(VALU_DEP_3)
	v_fmamk_f32 v89, v121, 0x3f575c64, v91
	v_fma_f32 v129, 0xbf27a4f4, v127, -v122
	v_fmac_f32_e32 v90, 0x3f575c64, v132
	v_fma_f32 v91, 0x3f575c64, v121, -v91
	s_delay_alu instid0(VALU_DEP_4) | instskip(SKIP_1) | instid1(VALU_DEP_3)
	v_dual_add_f32 v88, v88, v151 :: v_dual_add_f32 v89, v89, v150
	v_fmac_f32_e32 v122, 0xbf27a4f4, v127
	v_dual_add_f32 v90, v90, v149 :: v_dual_add_f32 v91, v91, v148
	s_delay_alu instid0(VALU_DEP_3) | instskip(NEXT) | instid1(VALU_DEP_2)
	v_dual_add_f32 v88, v129, v88 :: v_dual_mul_f32 v129, 0xbf4178ce, v162
	v_add_f32_e32 v90, v122, v90
	s_delay_alu instid0(VALU_DEP_2) | instskip(SKIP_1) | instid1(VALU_DEP_2)
	v_fmamk_f32 v133, v126, 0xbf27a4f4, v129
	v_fma_f32 v122, 0xbf27a4f4, v126, -v129
	v_add_f32_e32 v89, v133, v89
	v_mul_f32_e32 v133, 0x3f68dda4, v135
	s_delay_alu instid0(VALU_DEP_3) | instskip(NEXT) | instid1(VALU_DEP_2)
	v_add_f32_e32 v91, v122, v91
	v_fma_f32 v135, 0x3ed4b147, v164, -v133
	v_fmac_f32_e32 v133, 0x3ed4b147, v164
	s_delay_alu instid0(VALU_DEP_2) | instskip(SKIP_2) | instid1(VALU_DEP_2)
	v_add_f32_e32 v88, v135, v88
	v_fmamk_f32 v135, v119, 0x3ed4b147, v120
	v_fma_f32 v120, 0x3ed4b147, v119, -v120
	v_dual_add_f32 v90, v133, v90 :: v_dual_add_f32 v89, v135, v89
	v_fma_f32 v135, 0xbe11bafb, v166, -v131
	s_delay_alu instid0(VALU_DEP_3) | instskip(SKIP_2) | instid1(VALU_DEP_4)
	v_add_f32_e32 v91, v120, v91
	v_fmac_f32_e32 v131, 0xbe11bafb, v166
	v_fma_f32 v120, 0xbe11bafb, v123, -v125
	v_add_f32_e32 v88, v135, v88
	v_fmamk_f32 v135, v123, 0xbe11bafb, v125
	s_delay_alu instid0(VALU_DEP_3) | instskip(SKIP_1) | instid1(VALU_DEP_3)
	v_dual_add_f32 v90, v131, v90 :: v_dual_add_f32 v91, v120, v91
	v_fma_f32 v120, 0x3f575c64, v126, -v183
	v_add_f32_e32 v89, v135, v89
	ds_store_2addr_b64 v157, v[88:89], v[90:91] offset0:48 offset1:99
	v_fma_f32 v89, 0xbf75a155, v121, -v155
	v_fma_f32 v90, 0x3ed4b147, v126, -v177
	;; [unrolled: 1-line block ×3, first 2 shown]
	s_delay_alu instid0(VALU_DEP_3) | instskip(NEXT) | instid1(VALU_DEP_2)
	v_dual_add_f32 v88, v176, v147 :: v_dual_add_f32 v89, v89, v146
	v_add_f32_e32 v91, v91, v144
	s_delay_alu instid0(VALU_DEP_2) | instskip(NEXT) | instid1(VALU_DEP_3)
	v_add_f32_e32 v88, v154, v88
	v_add_f32_e32 v89, v90, v89
	v_fma_f32 v90, 0x3f575c64, v119, -v179
	s_delay_alu instid0(VALU_DEP_4) | instskip(SKIP_2) | instid1(VALU_DEP_4)
	v_add_f32_e32 v91, v120, v91
	v_fma_f32 v120, 0xbf75a155, v119, -v185
	v_add_f32_e32 v88, v178, v88
	v_add_f32_e32 v89, v90, v89
	v_fma_f32 v90, 0xbf27a4f4, v123, -v181
	s_delay_alu instid0(VALU_DEP_4) | instskip(SKIP_1) | instid1(VALU_DEP_3)
	v_add_f32_e32 v91, v120, v91
	v_fma_f32 v120, 0x3ed4b147, v123, -v187
	v_dual_add_f32 v88, v180, v88 :: v_dual_add_f32 v89, v90, v89
	s_delay_alu instid0(VALU_DEP_2) | instskip(NEXT) | instid1(VALU_DEP_1)
	v_dual_add_f32 v90, v182, v145 :: v_dual_add_f32 v91, v120, v91
	v_add_f32_e32 v90, v152, v90
	s_delay_alu instid0(VALU_DEP_1) | instskip(NEXT) | instid1(VALU_DEP_1)
	v_add_f32_e32 v90, v184, v90
	v_add_f32_e32 v90, v186, v90
	ds_store_2addr_b64 v157, v[90:91], v[88:89] offset0:150 offset1:201
	v_fma_f32 v89, 0x3ed4b147, v121, -v137
	v_fma_f32 v90, 0xbe11bafb, v126, -v163
	s_delay_alu instid0(VALU_DEP_2) | instskip(NEXT) | instid1(VALU_DEP_1)
	v_add_f32_e32 v89, v89, v142
	v_add_f32_e32 v89, v90, v89
	v_fma_f32 v90, 0xbf27a4f4, v119, -v165
	v_fma_f32 v120, 0xbf75a155, v126, -v171
	;; [unrolled: 1-line block ×3, first 2 shown]
	s_delay_alu instid0(VALU_DEP_3) | instskip(SKIP_2) | instid1(VALU_DEP_2)
	v_add_f32_e32 v89, v90, v89
	v_fma_f32 v90, 0xbf75a155, v123, -v167
	v_fmac_f32_e32 v172, 0xbe11bafb, v164
	v_dual_fmac_f32 v134, 0xbf27a4f4, v164 :: v_dual_add_f32 v89, v90, v89
	v_fma_f32 v90, 0xbf27a4f4, v121, -v161
	s_delay_alu instid0(VALU_DEP_1) | instskip(NEXT) | instid1(VALU_DEP_1)
	v_add_f32_e32 v90, v90, v141
	v_add_f32_e32 v90, v120, v90
	v_fma_f32 v120, 0x3f575c64, v123, -v175
	s_delay_alu instid0(VALU_DEP_2) | instskip(SKIP_1) | instid1(VALU_DEP_1)
	v_dual_add_f32 v119, v119, v90 :: v_dual_fmac_f32 v170, 0xbf27a4f4, v132
	v_fmac_f32_e32 v136, 0x3ed4b147, v132
	v_dual_add_f32 v91, v170, v140 :: v_dual_add_f32 v88, v136, v143
	s_delay_alu instid0(VALU_DEP_1) | instskip(NEXT) | instid1(VALU_DEP_2)
	v_add_f32_e32 v91, v160, v91
	v_add_f32_e32 v88, v128, v88
	s_delay_alu instid0(VALU_DEP_1) | instskip(NEXT) | instid1(VALU_DEP_1)
	v_dual_add_f32 v91, v172, v91 :: v_dual_add_f32 v88, v134, v88
	v_add_f32_e32 v90, v174, v91
	v_add_f32_e32 v91, v120, v119
	v_sub_f32_e32 v119, v98, v118
	v_fmac_f32_e32 v130, 0xbf75a155, v166
	s_delay_alu instid0(VALU_DEP_2) | instskip(NEXT) | instid1(VALU_DEP_2)
	v_mul_f32_e32 v122, 0xbf68dda4, v119
	v_dual_add_f32 v88, v130, v88 :: v_dual_mul_f32 v133, 0xbf4178ce, v119
	v_mul_f32_e32 v145, 0x3e903f40, v119
	v_mul_f32_e32 v154, 0x3f7d64f0, v119
	;; [unrolled: 1-line block ×3, first 2 shown]
	ds_store_2addr_b64 v158, v[90:91], v[88:89] offset0:124 offset1:175
	v_mul_f32_e32 v88, v87, v75
	v_mul_f32_e32 v89, v86, v75
	s_delay_alu instid0(VALU_DEP_2) | instskip(NEXT) | instid1(VALU_DEP_2)
	v_fma_f32 v88, v86, v74, -v88
	v_fmac_f32_e32 v89, v87, v74
	v_dual_add_f32 v86, v84, v94 :: v_dual_add_f32 v87, v85, v93
	s_delay_alu instid0(VALU_DEP_3) | instskip(SKIP_1) | instid1(VALU_DEP_3)
	v_add_f32_e32 v90, v94, v88
	v_sub_f32_e32 v91, v94, v88
	v_dual_add_f32 v86, v86, v98 :: v_dual_add_f32 v87, v87, v95
	v_add_f32_e32 v98, v98, v118
	v_sub_f32_e32 v94, v93, v89
	s_delay_alu instid0(VALU_DEP_3) | instskip(NEXT) | instid1(VALU_DEP_4)
	v_dual_add_f32 v93, v93, v89 :: v_dual_add_f32 v86, v86, v106
	v_add_f32_e32 v87, v87, v104
	v_mul_f32_e32 v121, 0xbf0a6770, v91
	v_mul_f32_e32 v132, 0xbf68dda4, v91
	;; [unrolled: 1-line block ×3, first 2 shown]
	s_delay_alu instid0(VALU_DEP_4) | instskip(SKIP_3) | instid1(VALU_DEP_4)
	v_dual_add_f32 v86, v86, v105 :: v_dual_add_f32 v87, v87, v102
	v_mul_f32_e32 v144, 0xbf7d64f0, v91
	v_mul_f32_e32 v153, 0xbf4178ce, v91
	;; [unrolled: 1-line block ×3, first 2 shown]
	v_add_f32_e32 v86, v86, v103
	s_delay_alu instid0(VALU_DEP_1) | instskip(NEXT) | instid1(VALU_DEP_1)
	v_dual_add_f32 v87, v87, v99 :: v_dual_add_f32 v86, v86, v110
	v_dual_add_f32 v87, v87, v107 :: v_dual_add_f32 v86, v86, v112
	s_delay_alu instid0(VALU_DEP_1) | instskip(NEXT) | instid1(VALU_DEP_1)
	v_dual_add_f32 v87, v87, v111 :: v_dual_add_f32 v86, v86, v114
	v_dual_add_f32 v87, v87, v113 :: v_dual_add_f32 v86, v86, v118
	s_delay_alu instid0(VALU_DEP_1) | instskip(SKIP_2) | instid1(VALU_DEP_4)
	v_add_f32_e32 v87, v87, v115
	v_sub_f32_e32 v118, v95, v115
	v_add_f32_e32 v95, v95, v115
	v_dual_mul_f32 v115, 0xbf0a6770, v94 :: v_dual_add_f32 v86, v86, v88
	s_delay_alu instid0(VALU_DEP_3) | instskip(NEXT) | instid1(VALU_DEP_3)
	v_dual_add_f32 v87, v87, v89 :: v_dual_mul_f32 v120, 0xbf68dda4, v118
	v_fmamk_f32 v123, v95, 0x3ed4b147, v122
	s_delay_alu instid0(VALU_DEP_3)
	v_fma_f32 v88, 0x3f575c64, v90, -v115
	v_mul_f32_e32 v131, 0xbf4178ce, v118
	v_mul_f32_e32 v143, 0x3e903f40, v118
	v_fma_f32 v89, 0x3ed4b147, v98, -v120
	v_fmamk_f32 v146, v95, 0xbf75a155, v145
	v_dual_add_f32 v88, v84, v88 :: v_dual_fmamk_f32 v165, v95, 0x3f575c64, v119
	s_delay_alu instid0(VALU_DEP_1) | instskip(SKIP_1) | instid1(VALU_DEP_1)
	v_add_f32_e32 v88, v89, v88
	v_fmamk_f32 v89, v93, 0x3f575c64, v121
	v_add_f32_e32 v89, v85, v89
	s_delay_alu instid0(VALU_DEP_1) | instskip(SKIP_3) | instid1(VALU_DEP_1)
	v_add_f32_e32 v89, v123, v89
	v_add_f32_e32 v123, v106, v114
	v_sub_f32_e32 v106, v106, v114
	v_sub_f32_e32 v114, v104, v113
	v_dual_add_f32 v104, v104, v113 :: v_dual_mul_f32 v113, 0xbf7d64f0, v114
	s_delay_alu instid0(VALU_DEP_1) | instskip(SKIP_3) | instid1(VALU_DEP_4)
	v_fma_f32 v125, 0xbe11bafb, v123, -v113
	v_fmac_f32_e32 v113, 0xbe11bafb, v123
	v_mul_f32_e32 v135, 0x3e903f40, v106
	v_mul_f32_e32 v160, 0xbf0a6770, v106
	v_dual_add_f32 v88, v125, v88 :: v_dual_mul_f32 v125, 0xbf7d64f0, v106
	s_delay_alu instid0(VALU_DEP_1) | instskip(NEXT) | instid1(VALU_DEP_1)
	v_fmamk_f32 v126, v104, 0xbe11bafb, v125
	v_dual_add_f32 v89, v126, v89 :: v_dual_add_f32 v126, v105, v112
	v_dual_sub_f32 v105, v105, v112 :: v_dual_sub_f32 v112, v102, v111
	s_delay_alu instid0(VALU_DEP_1) | instskip(NEXT) | instid1(VALU_DEP_2)
	v_dual_add_f32 v102, v102, v111 :: v_dual_mul_f32 v137, 0x3f7d64f0, v105
	v_mul_f32_e32 v111, 0xbf4178ce, v112
	v_mul_f32_e32 v136, 0x3f7d64f0, v112
	v_dual_mul_f32 v161, 0xbe903f40, v112 :: v_dual_mul_f32 v162, 0xbe903f40, v105
	s_delay_alu instid0(VALU_DEP_3) | instskip(SKIP_2) | instid1(VALU_DEP_3)
	v_fma_f32 v127, 0xbf27a4f4, v126, -v111
	v_fmac_f32_e32 v111, 0xbf27a4f4, v126
	v_mul_f32_e32 v134, 0x3e903f40, v114
	v_dual_mul_f32 v155, 0xbf0a6770, v114 :: v_dual_add_f32 v88, v127, v88
	v_mul_f32_e32 v127, 0xbf4178ce, v105
	s_delay_alu instid0(VALU_DEP_1) | instskip(NEXT) | instid1(VALU_DEP_1)
	v_fmamk_f32 v128, v102, 0xbf27a4f4, v127
	v_dual_add_f32 v89, v128, v89 :: v_dual_sub_f32 v128, v103, v110
	v_add_f32_e32 v103, v103, v110
	v_sub_f32_e32 v110, v99, v107
	v_add_f32_e32 v99, v99, v107
	s_delay_alu instid0(VALU_DEP_4) | instskip(SKIP_1) | instid1(VALU_DEP_4)
	v_mul_f32_e32 v141, 0x3f0a6770, v128
	v_mul_f32_e32 v164, 0x3f68dda4, v128
	;; [unrolled: 1-line block ×5, first 2 shown]
	s_delay_alu instid0(VALU_DEP_3) | instskip(NEXT) | instid1(VALU_DEP_1)
	v_fma_f32 v129, 0xbf75a155, v103, -v107
	v_dual_fmac_f32 v107, 0xbf75a155, v103 :: v_dual_add_f32 v88, v129, v88
	v_mul_f32_e32 v129, 0xbe903f40, v128
	s_delay_alu instid0(VALU_DEP_1) | instskip(NEXT) | instid1(VALU_DEP_1)
	v_fmamk_f32 v130, v99, 0xbf75a155, v129
	v_dual_add_f32 v89, v130, v89 :: v_dual_mul_f32 v130, 0xbf68dda4, v94
	ds_store_2addr_b64 v92, v[86:87], v[88:89] offset0:98 offset1:149
	v_fma_f32 v86, 0x3ed4b147, v90, -v130
	v_fma_f32 v87, 0xbf27a4f4, v98, -v131
	v_fmamk_f32 v88, v95, 0xbf27a4f4, v133
	v_fma_f32 v89, 0xbf75a155, v98, -v143
	s_delay_alu instid0(VALU_DEP_4) | instskip(NEXT) | instid1(VALU_DEP_1)
	v_add_f32_e32 v86, v84, v86
	v_dual_add_f32 v86, v87, v86 :: v_dual_fmamk_f32 v87, v93, 0x3ed4b147, v132
	s_delay_alu instid0(VALU_DEP_1) | instskip(NEXT) | instid1(VALU_DEP_1)
	v_add_f32_e32 v87, v85, v87
	v_add_f32_e32 v87, v88, v87
	v_fma_f32 v88, 0xbf75a155, v123, -v134
	v_fmac_f32_e32 v134, 0xbf75a155, v123
	s_delay_alu instid0(VALU_DEP_2) | instskip(SKIP_1) | instid1(VALU_DEP_1)
	v_add_f32_e32 v86, v88, v86
	v_fmamk_f32 v88, v104, 0xbf75a155, v135
	v_add_f32_e32 v87, v88, v87
	v_fma_f32 v88, 0xbe11bafb, v126, -v136
	v_fmac_f32_e32 v136, 0xbe11bafb, v126
	s_delay_alu instid0(VALU_DEP_2) | instskip(SKIP_1) | instid1(VALU_DEP_1)
	v_add_f32_e32 v86, v88, v86
	v_fmamk_f32 v88, v102, 0xbe11bafb, v137
	v_add_f32_e32 v87, v88, v87
	v_fma_f32 v88, 0x3f575c64, v103, -v140
	v_fmac_f32_e32 v140, 0x3f575c64, v103
	s_delay_alu instid0(VALU_DEP_2) | instskip(SKIP_1) | instid1(VALU_DEP_1)
	v_add_f32_e32 v86, v88, v86
	v_fmamk_f32 v88, v99, 0x3f575c64, v141
	v_add_f32_e32 v87, v88, v87
	v_fma_f32 v88, 0xbe11bafb, v90, -v142
	s_delay_alu instid0(VALU_DEP_1) | instskip(NEXT) | instid1(VALU_DEP_1)
	v_add_f32_e32 v88, v84, v88
	v_add_f32_e32 v88, v89, v88
	v_fmamk_f32 v89, v93, 0xbe11bafb, v144
	s_delay_alu instid0(VALU_DEP_1) | instskip(NEXT) | instid1(VALU_DEP_1)
	v_add_f32_e32 v89, v85, v89
	v_dual_add_f32 v89, v146, v89 :: v_dual_mul_f32 v146, 0x3f68dda4, v114
	v_mul_f32_e32 v114, 0xbf4178ce, v114
	s_delay_alu instid0(VALU_DEP_2) | instskip(SKIP_1) | instid1(VALU_DEP_2)
	v_fma_f32 v147, 0x3ed4b147, v123, -v146
	v_fmac_f32_e32 v146, 0x3ed4b147, v123
	v_dual_add_f32 v88, v147, v88 :: v_dual_mul_f32 v147, 0x3f68dda4, v106
	v_mul_f32_e32 v106, 0xbf4178ce, v106
	s_delay_alu instid0(VALU_DEP_2) | instskip(NEXT) | instid1(VALU_DEP_1)
	v_fmamk_f32 v148, v104, 0x3ed4b147, v147
	v_dual_add_f32 v89, v148, v89 :: v_dual_mul_f32 v148, 0xbf0a6770, v112
	v_mul_f32_e32 v112, 0x3f68dda4, v112
	s_delay_alu instid0(VALU_DEP_2) | instskip(SKIP_1) | instid1(VALU_DEP_2)
	v_fma_f32 v149, 0x3f575c64, v126, -v148
	v_fmac_f32_e32 v148, 0x3f575c64, v126
	v_dual_add_f32 v88, v149, v88 :: v_dual_mul_f32 v149, 0xbf0a6770, v105
	v_mul_f32_e32 v105, 0x3f68dda4, v105
	s_delay_alu instid0(VALU_DEP_2) | instskip(NEXT) | instid1(VALU_DEP_1)
	v_fmamk_f32 v150, v102, 0x3f575c64, v149
	v_dual_add_f32 v89, v150, v89 :: v_dual_mul_f32 v150, 0xbf4178ce, v110
	v_mul_f32_e32 v110, 0xbf7d64f0, v110
	s_delay_alu instid0(VALU_DEP_2) | instskip(SKIP_1) | instid1(VALU_DEP_2)
	v_fma_f32 v151, 0xbf27a4f4, v103, -v150
	v_fmac_f32_e32 v150, 0xbf27a4f4, v103
	v_add_f32_e32 v88, v151, v88
	v_mul_f32_e32 v151, 0xbf4178ce, v128
	v_mul_f32_e32 v128, 0xbf7d64f0, v128
	s_delay_alu instid0(VALU_DEP_2) | instskip(NEXT) | instid1(VALU_DEP_1)
	v_fmamk_f32 v152, v99, 0xbf27a4f4, v151
	v_dual_add_f32 v89, v152, v89 :: v_dual_mul_f32 v152, 0x3f7d64f0, v118
	v_mul_f32_e32 v118, 0x3f0a6770, v118
	ds_store_2addr_b64 v92, v[86:87], v[88:89] offset0:200 offset1:251
	v_mul_f32_e32 v92, 0xbf4178ce, v94
	v_fma_f32 v87, 0xbe11bafb, v98, -v152
	v_fmamk_f32 v88, v95, 0xbe11bafb, v154
	v_mul_f32_e32 v94, 0xbe903f40, v94
	v_fma_f32 v89, 0x3f575c64, v98, -v118
	v_fma_f32 v86, 0xbf27a4f4, v90, -v92
	v_fmac_f32_e32 v92, 0xbf27a4f4, v90
	v_fmac_f32_e32 v152, 0xbe11bafb, v98
	;; [unrolled: 1-line block ×3, first 2 shown]
	s_delay_alu instid0(VALU_DEP_4) | instskip(NEXT) | instid1(VALU_DEP_1)
	v_add_f32_e32 v86, v84, v86
	v_dual_add_f32 v86, v87, v86 :: v_dual_fmamk_f32 v87, v93, 0xbf27a4f4, v153
	s_delay_alu instid0(VALU_DEP_1) | instskip(NEXT) | instid1(VALU_DEP_1)
	v_add_f32_e32 v87, v85, v87
	v_add_f32_e32 v87, v88, v87
	v_fma_f32 v88, 0x3f575c64, v123, -v155
	s_delay_alu instid0(VALU_DEP_1) | instskip(SKIP_1) | instid1(VALU_DEP_1)
	v_dual_fmac_f32 v155, 0x3f575c64, v123 :: v_dual_add_f32 v86, v88, v86
	v_fmamk_f32 v88, v104, 0x3f575c64, v160
	v_add_f32_e32 v87, v88, v87
	v_fma_f32 v88, 0xbf75a155, v126, -v161
	v_fmac_f32_e32 v161, 0xbf75a155, v126
	s_delay_alu instid0(VALU_DEP_2) | instskip(SKIP_1) | instid1(VALU_DEP_1)
	v_add_f32_e32 v86, v88, v86
	v_fmamk_f32 v88, v102, 0xbf75a155, v162
	v_add_f32_e32 v87, v88, v87
	v_fma_f32 v88, 0x3ed4b147, v103, -v163
	s_delay_alu instid0(VALU_DEP_1) | instskip(SKIP_1) | instid1(VALU_DEP_1)
	v_dual_fmac_f32 v163, 0x3ed4b147, v103 :: v_dual_add_f32 v86, v88, v86
	v_fmamk_f32 v88, v99, 0x3ed4b147, v164
	v_add_f32_e32 v87, v88, v87
	v_fma_f32 v88, 0xbf75a155, v90, -v94
	v_fmac_f32_e32 v94, 0xbf75a155, v90
	s_delay_alu instid0(VALU_DEP_2) | instskip(NEXT) | instid1(VALU_DEP_1)
	v_add_f32_e32 v88, v84, v88
	v_add_f32_e32 v88, v89, v88
	v_fmamk_f32 v89, v93, 0xbf75a155, v91
	s_delay_alu instid0(VALU_DEP_1) | instskip(NEXT) | instid1(VALU_DEP_1)
	v_add_f32_e32 v89, v85, v89
	v_add_f32_e32 v89, v165, v89
	v_fma_f32 v165, 0xbf27a4f4, v123, -v114
	v_fmac_f32_e32 v114, 0xbf27a4f4, v123
	s_delay_alu instid0(VALU_DEP_2) | instskip(NEXT) | instid1(VALU_DEP_1)
	v_dual_add_f32 v88, v165, v88 :: v_dual_fmamk_f32 v165, v104, 0xbf27a4f4, v106
	v_add_f32_e32 v89, v165, v89
	v_fma_f32 v165, 0x3ed4b147, v126, -v112
	v_fmac_f32_e32 v112, 0x3ed4b147, v126
	s_delay_alu instid0(VALU_DEP_2) | instskip(NEXT) | instid1(VALU_DEP_1)
	v_dual_add_f32 v88, v165, v88 :: v_dual_fmamk_f32 v165, v102, 0x3ed4b147, v105
	;; [unrolled: 5-line block ×3, first 2 shown]
	v_add_f32_e32 v89, v165, v89
	v_add_nc_u32_e32 v165, 0x2800, v0
	ds_store_2addr_b64 v165, v[86:87], v[88:89] offset0:46 offset1:97
	v_fma_f32 v87, 0xbf27a4f4, v93, -v153
	v_fma_f32 v88, 0xbe11bafb, v95, -v154
	;; [unrolled: 1-line block ×3, first 2 shown]
	v_add_f32_e32 v86, v84, v92
	v_fma_f32 v91, 0x3f575c64, v95, -v119
	v_add_f32_e32 v87, v85, v87
	s_delay_alu instid0(VALU_DEP_3) | instskip(NEXT) | instid1(VALU_DEP_2)
	v_dual_add_f32 v89, v85, v89 :: v_dual_add_f32 v86, v152, v86
	v_add_f32_e32 v87, v88, v87
	v_fma_f32 v88, 0x3f575c64, v104, -v160
	s_delay_alu instid0(VALU_DEP_3) | instskip(SKIP_1) | instid1(VALU_DEP_3)
	v_add_f32_e32 v89, v91, v89
	v_fma_f32 v91, 0xbf27a4f4, v104, -v106
	v_dual_add_f32 v86, v155, v86 :: v_dual_add_f32 v87, v88, v87
	v_fma_f32 v88, 0xbf75a155, v102, -v162
	s_delay_alu instid0(VALU_DEP_3) | instskip(SKIP_1) | instid1(VALU_DEP_3)
	v_add_f32_e32 v89, v91, v89
	v_fma_f32 v91, 0x3ed4b147, v102, -v105
	v_dual_add_f32 v86, v161, v86 :: v_dual_add_f32 v87, v88, v87
	;; [unrolled: 5-line block ×3, first 2 shown]
	s_delay_alu instid0(VALU_DEP_2) | instskip(SKIP_1) | instid1(VALU_DEP_2)
	v_dual_add_f32 v88, v84, v94 :: v_dual_add_f32 v89, v91, v89
	v_fma_f32 v91, 0xbf75a155, v95, -v145
	v_add_f32_e32 v88, v118, v88
	s_delay_alu instid0(VALU_DEP_1) | instskip(NEXT) | instid1(VALU_DEP_1)
	v_add_f32_e32 v88, v114, v88
	v_add_f32_e32 v88, v112, v88
	s_delay_alu instid0(VALU_DEP_1) | instskip(SKIP_4) | instid1(VALU_DEP_3)
	v_add_f32_e32 v88, v110, v88
	ds_store_2addr_b64 v165, v[88:89], v[86:87] offset0:148 offset1:199
	v_fma_f32 v87, 0x3ed4b147, v93, -v132
	v_fma_f32 v88, 0xbf27a4f4, v95, -v133
	;; [unrolled: 1-line block ×3, first 2 shown]
	v_add_f32_e32 v87, v85, v87
	s_delay_alu instid0(VALU_DEP_2) | instskip(NEXT) | instid1(VALU_DEP_2)
	v_dual_add_f32 v89, v85, v89 :: v_dual_fmac_f32 v130, 0x3ed4b147, v90
	v_dual_fmac_f32 v142, 0xbe11bafb, v90 :: v_dual_add_f32 v87, v88, v87
	v_fma_f32 v88, 0xbf75a155, v104, -v135
	s_delay_alu instid0(VALU_DEP_3)
	v_add_f32_e32 v89, v91, v89
	v_fma_f32 v91, 0x3ed4b147, v104, -v147
	v_add_f32_e32 v86, v84, v130
	v_fmac_f32_e32 v115, 0x3f575c64, v90
	v_add_f32_e32 v87, v88, v87
	v_fma_f32 v88, 0xbe11bafb, v102, -v137
	v_add_f32_e32 v89, v91, v89
	v_fmac_f32_e32 v131, 0xbf27a4f4, v98
	v_fmac_f32_e32 v143, 0xbf75a155, v98
	v_fma_f32 v91, 0x3f575c64, v102, -v149
	v_add_f32_e32 v87, v88, v87
	v_fma_f32 v88, 0x3f575c64, v99, -v141
	v_add_f32_e32 v86, v131, v86
	s_delay_alu instid0(VALU_DEP_4) | instskip(SKIP_1) | instid1(VALU_DEP_4)
	v_add_f32_e32 v89, v91, v89
	v_fma_f32 v91, 0xbf27a4f4, v99, -v151
	v_add_f32_e32 v87, v88, v87
	v_add_f32_e32 v88, v84, v142
	;; [unrolled: 1-line block ×3, first 2 shown]
	s_delay_alu instid0(VALU_DEP_4) | instskip(SKIP_1) | instid1(VALU_DEP_4)
	v_dual_add_f32 v84, v84, v115 :: v_dual_add_f32 v89, v91, v89
	v_add_nc_u32_e32 v91, 0x2c00, v0
	v_add_f32_e32 v88, v143, v88
	s_delay_alu instid0(VALU_DEP_4) | instskip(SKIP_1) | instid1(VALU_DEP_3)
	v_add_f32_e32 v86, v136, v86
	v_fmac_f32_e32 v120, 0x3ed4b147, v98
	v_add_f32_e32 v88, v146, v88
	s_delay_alu instid0(VALU_DEP_3) | instskip(NEXT) | instid1(VALU_DEP_3)
	v_add_f32_e32 v86, v140, v86
	v_add_f32_e32 v84, v120, v84
	s_delay_alu instid0(VALU_DEP_3) | instskip(NEXT) | instid1(VALU_DEP_2)
	v_add_f32_e32 v88, v148, v88
	v_add_f32_e32 v84, v113, v84
	s_delay_alu instid0(VALU_DEP_2) | instskip(NEXT) | instid1(VALU_DEP_2)
	v_add_f32_e32 v88, v150, v88
	v_add_f32_e32 v84, v111, v84
	ds_store_2addr_b64 v91, v[88:89], v[86:87] offset0:122 offset1:173
	v_fma_f32 v86, 0x3f575c64, v93, -v121
	s_delay_alu instid0(VALU_DEP_1) | instskip(SKIP_1) | instid1(VALU_DEP_1)
	v_dual_add_f32 v84, v107, v84 :: v_dual_add_f32 v85, v85, v86
	v_fma_f32 v86, 0x3ed4b147, v95, -v122
	v_add_f32_e32 v85, v86, v85
	v_fma_f32 v86, 0xbe11bafb, v104, -v125
	s_delay_alu instid0(VALU_DEP_1) | instskip(SKIP_1) | instid1(VALU_DEP_1)
	v_add_f32_e32 v85, v86, v85
	v_fma_f32 v86, 0xbf27a4f4, v102, -v127
	v_add_f32_e32 v85, v86, v85
	v_fma_f32 v86, 0xbf75a155, v99, -v129
	s_delay_alu instid0(VALU_DEP_1)
	v_add_f32_e32 v85, v86, v85
	ds_store_b64 v0, v[84:85] offset:13056
	v_lshlrev_b32_e32 v84, 4, v236
	v_lshlrev_b32_e32 v85, 4, v241
	global_wb scope:SCOPE_SE
	s_wait_storecnt_dscnt 0x0
	s_barrier_signal -1
	s_barrier_wait -1
	global_inv scope:SCOPE_SE
	s_clause 0x1
	global_load_b128 v[92:95], v84, s[0:1] offset:4352
	global_load_b128 v[84:87], v85, s[0:1] offset:4352
	ds_load_2addr_b64 v[88:91], v139 offset0:98 offset1:149
	ds_load_2addr_b64 v[102:105], v138 offset0:100 offset1:151
	s_wait_loadcnt_dscnt 0x101
	v_mul_f32_e32 v98, v89, v95
	v_mul_f32_e32 v129, v88, v95
	s_wait_loadcnt 0x0
	v_mul_f32_e32 v131, v90, v87
	s_wait_dscnt 0x0
	v_mul_f32_e32 v147, v102, v85
	v_fma_f32 v128, v88, v94, -v98
	v_dual_mul_f32 v88, v91, v87 :: v_dual_fmac_f32 v129, v89, v94
	v_mul_f32_e32 v89, v103, v85
	v_fmac_f32_e32 v131, v91, v86
	v_fmac_f32_e32 v147, v103, v84
	s_delay_alu instid0(VALU_DEP_4)
	v_fma_f32 v130, v90, v86, -v88
	v_lshlrev_b32_e32 v88, 4, v96
	v_fma_f32 v148, v102, v84, -v89
	v_lshlrev_b32_e32 v89, 4, v97
	s_clause 0x1
	global_load_b128 v[96:99], v88, s[0:1] offset:4352
	global_load_b128 v[88:91], v89, s[0:1] offset:4352
	ds_load_2addr_b64 v[110:113], v138 offset0:202 offset1:253
	s_wait_loadcnt 0x1
	v_mul_f32_e32 v102, v105, v97
	v_mul_f32_e32 v143, v104, v97
	s_wait_loadcnt_dscnt 0x0
	v_mul_f32_e32 v151, v110, v89
	s_delay_alu instid0(VALU_DEP_3) | instskip(NEXT) | instid1(VALU_DEP_3)
	v_fma_f32 v142, v104, v96, -v102
	v_fmac_f32_e32 v143, v105, v96
	ds_load_2addr_b64 v[102:105], v139 offset0:200 offset1:251
	v_fmac_f32_e32 v151, v111, v88
	s_wait_dscnt 0x0
	v_mul_f32_e32 v106, v103, v99
	v_mul_f32_e32 v141, v102, v99
	;; [unrolled: 1-line block ×3, first 2 shown]
	s_delay_alu instid0(VALU_DEP_3) | instskip(NEXT) | instid1(VALU_DEP_3)
	v_fma_f32 v140, v102, v98, -v106
	v_dual_mul_f32 v102, v105, v91 :: v_dual_fmac_f32 v141, v103, v98
	s_delay_alu instid0(VALU_DEP_3) | instskip(NEXT) | instid1(VALU_DEP_2)
	v_fmac_f32_e32 v145, v105, v90
	v_fma_f32 v144, v104, v90, -v102
	v_mul_f32_e32 v102, v111, v89
	s_delay_alu instid0(VALU_DEP_1)
	v_fma_f32 v149, v110, v88, -v102
	s_clause 0x1
	global_load_b128 v[104:107], v101, s[0:1] offset:4352
	global_load_b128 v[100:103], v100, s[0:1] offset:4352
	ds_load_2addr_b64 v[118:121], v157 offset0:48 offset1:99
	s_wait_loadcnt 0x1
	v_mul_f32_e32 v110, v113, v105
	v_mul_f32_e32 v180, v112, v105
	s_wait_loadcnt_dscnt 0x0
	v_mul_f32_e32 v185, v118, v101
	s_delay_alu instid0(VALU_DEP_3) | instskip(NEXT) | instid1(VALU_DEP_3)
	v_fma_f32 v179, v112, v104, -v110
	v_fmac_f32_e32 v180, v113, v104
	ds_load_2addr_b64 v[110:113], v156 offset0:46 offset1:97
	v_fmac_f32_e32 v185, v119, v100
	s_wait_dscnt 0x0
	v_mul_f32_e32 v114, v111, v107
	v_mul_f32_e32 v182, v110, v107
	;; [unrolled: 1-line block ×3, first 2 shown]
	s_delay_alu instid0(VALU_DEP_3) | instskip(SKIP_1) | instid1(VALU_DEP_4)
	v_fma_f32 v181, v110, v106, -v114
	v_mul_f32_e32 v110, v113, v103
	v_fmac_f32_e32 v182, v111, v106
	s_delay_alu instid0(VALU_DEP_4) | instskip(NEXT) | instid1(VALU_DEP_3)
	v_fmac_f32_e32 v183, v113, v102
	v_fma_f32 v146, v112, v102, -v110
	v_mul_f32_e32 v110, v119, v101
	s_delay_alu instid0(VALU_DEP_1)
	v_fma_f32 v184, v118, v100, -v110
	s_clause 0x1
	global_load_b128 v[112:115], v108, s[0:1] offset:4352
	global_load_b128 v[108:111], v109, s[0:1] offset:4352
	ds_load_2addr_b64 v[132:135], v157 offset0:150 offset1:201
	s_wait_loadcnt 0x1
	v_mul_f32_e32 v118, v121, v113
	v_mul_f32_e32 v187, v120, v113
	s_wait_loadcnt_dscnt 0x0
	v_mul_f32_e32 v150, v132, v109
	s_delay_alu instid0(VALU_DEP_3) | instskip(NEXT) | instid1(VALU_DEP_3)
	v_fma_f32 v186, v120, v112, -v118
	v_fmac_f32_e32 v187, v121, v112
	ds_load_2addr_b64 v[118:121], v156 offset0:148 offset1:199
	v_fmac_f32_e32 v150, v133, v108
	s_wait_dscnt 0x0
	v_mul_f32_e32 v122, v119, v115
	v_mul_f32_e32 v189, v118, v115
	;; [unrolled: 1-line block ×3, first 2 shown]
	s_delay_alu instid0(VALU_DEP_3) | instskip(NEXT) | instid1(VALU_DEP_3)
	v_fma_f32 v188, v118, v114, -v122
	v_dual_mul_f32 v118, v121, v111 :: v_dual_fmac_f32 v189, v119, v114
	s_delay_alu instid0(VALU_DEP_3) | instskip(NEXT) | instid1(VALU_DEP_2)
	v_fmac_f32_e32 v137, v121, v110
	v_fma_f32 v136, v120, v110, -v118
	v_mul_f32_e32 v118, v133, v109
	s_delay_alu instid0(VALU_DEP_1)
	v_fma_f32 v152, v132, v108, -v118
	s_clause 0x1
	global_load_b128 v[120:123], v116, s[0:1] offset:4352
	global_load_b128 v[116:119], v117, s[0:1] offset:4352
	s_wait_loadcnt 0x1
	v_mul_f32_e32 v125, v135, v121
	v_mul_f32_e32 v160, v134, v121
	s_delay_alu instid0(VALU_DEP_2) | instskip(NEXT) | instid1(VALU_DEP_2)
	v_fma_f32 v153, v134, v120, -v125
	v_fmac_f32_e32 v160, v135, v120
	ds_load_2addr_b64 v[132:135], v159 offset0:122 offset1:173
	s_wait_dscnt 0x0
	v_mul_f32_e32 v125, v133, v123
	v_mul_f32_e32 v161, v132, v123
	s_wait_loadcnt 0x0
	v_mul_f32_e32 v155, v134, v119
	s_delay_alu instid0(VALU_DEP_3) | instskip(SKIP_2) | instid1(VALU_DEP_4)
	v_fma_f32 v162, v132, v122, -v125
	v_mul_f32_e32 v125, v135, v119
	v_fmac_f32_e32 v161, v133, v122
	v_fmac_f32_e32 v155, v135, v118
	s_delay_alu instid0(VALU_DEP_3) | instskip(SKIP_4) | instid1(VALU_DEP_2)
	v_fma_f32 v154, v134, v118, -v125
	ds_load_2addr_b64 v[132:135], v158 offset0:124 offset1:175
	s_wait_dscnt 0x0
	v_mul_f32_e32 v125, v133, v117
	v_mul_f32_e32 v163, v132, v117
	v_fma_f32 v170, v132, v116, -v125
	global_load_b128 v[124:127], v124, s[0:1] offset:4352
	v_fmac_f32_e32 v163, v133, v116
	s_add_nc_u64 s[0:1], s[12:13], 0x3498
	s_wait_loadcnt 0x0
	v_mul_f32_e32 v132, v135, v125
	v_mul_f32_e32 v172, v134, v125
	s_delay_alu instid0(VALU_DEP_2) | instskip(NEXT) | instid1(VALU_DEP_2)
	v_fma_f32 v171, v134, v124, -v132
	v_fmac_f32_e32 v172, v135, v124
	ds_load_2addr_b64 v[132:135], v168 offset0:126 offset1:177
	s_wait_dscnt 0x0
	v_mul_f32_e32 v164, v135, v93
	v_mul_f32_e32 v176, v134, v93
	s_delay_alu instid0(VALU_DEP_2) | instskip(SKIP_4) | instid1(VALU_DEP_3)
	v_fma_f32 v175, v134, v92, -v164
	ds_load_2addr_b64 v[164:167], v239 offset1:51
	v_fmac_f32_e32 v176, v135, v92
	v_add_f32_e32 v134, v175, v128
	v_sub_f32_e32 v177, v175, v128
	v_add_f32_e32 v135, v176, v129
	v_sub_f32_e32 v174, v176, v129
	s_wait_dscnt 0x0
	v_fma_f32 v134, -0.5, v134, v164
	s_delay_alu instid0(VALU_DEP_3) | instskip(SKIP_1) | instid1(VALU_DEP_3)
	v_fma_f32 v135, -0.5, v135, v165
	v_dual_add_f32 v190, v166, v148 :: v_dual_add_f32 v191, v167, v147
	v_dual_add_f32 v192, v164, v175 :: v_dual_fmamk_f32 v173, v174, 0x3f5db3d7, v134
	v_fmac_f32_e32 v134, 0xbf5db3d7, v174
	s_delay_alu instid0(VALU_DEP_4) | instskip(SKIP_4) | instid1(VALU_DEP_3)
	v_fmamk_f32 v174, v177, 0xbf5db3d7, v135
	v_fmac_f32_e32 v135, 0x3f5db3d7, v177
	v_add_f32_e32 v177, v148, v130
	v_dual_add_f32 v193, v165, v176 :: v_dual_sub_f32 v176, v143, v141
	v_add_f32_e32 v128, v192, v128
	v_fma_f32 v166, -0.5, v177, v166
	v_add_f32_e32 v177, v147, v131
	s_delay_alu instid0(VALU_DEP_4) | instskip(NEXT) | instid1(VALU_DEP_2)
	v_add_f32_e32 v129, v193, v129
	v_fmac_f32_e32 v167, -0.5, v177
	v_sub_f32_e32 v177, v147, v131
	v_add_f32_e32 v131, v191, v131
	s_delay_alu instid0(VALU_DEP_2) | instskip(SKIP_2) | instid1(VALU_DEP_2)
	v_fmamk_f32 v147, v177, 0x3f5db3d7, v166
	v_dual_fmac_f32 v166, 0xbf5db3d7, v177 :: v_dual_sub_f32 v177, v148, v130
	v_add_f32_e32 v130, v190, v130
	v_fmamk_f32 v148, v177, 0xbf5db3d7, v167
	v_fmac_f32_e32 v167, 0x3f5db3d7, v177
	v_sub_f32_e32 v177, v142, v140
	ds_store_2addr_b64 v139, v[134:135], v[166:167] offset0:98 offset1:149
	ds_load_2addr_b64 v[164:167], v239 offset0:102 offset1:153
	v_dual_add_f32 v134, v142, v140 :: v_dual_add_f32 v135, v143, v141
	s_wait_dscnt 0x0
	s_delay_alu instid0(VALU_DEP_1) | instskip(NEXT) | instid1(VALU_DEP_2)
	v_fma_f32 v134, -0.5, v134, v164
	v_fma_f32 v135, -0.5, v135, v165
	v_dual_add_f32 v194, v166, v149 :: v_dual_add_f32 v195, v167, v151
	s_delay_alu instid0(VALU_DEP_3) | instskip(SKIP_1) | instid1(VALU_DEP_4)
	v_fmamk_f32 v175, v176, 0x3f5db3d7, v134
	v_fmac_f32_e32 v134, 0xbf5db3d7, v176
	v_fmamk_f32 v176, v177, 0xbf5db3d7, v135
	v_fmac_f32_e32 v135, 0x3f5db3d7, v177
	v_add_f32_e32 v177, v149, v144
	v_sub_f32_e32 v149, v149, v144
	s_delay_alu instid0(VALU_DEP_2) | instskip(SKIP_2) | instid1(VALU_DEP_2)
	v_fma_f32 v166, -0.5, v177, v166
	v_add_f32_e32 v177, v151, v145
	v_sub_f32_e32 v151, v151, v145
	v_fmac_f32_e32 v167, -0.5, v177
	s_delay_alu instid0(VALU_DEP_2) | instskip(SKIP_1) | instid1(VALU_DEP_3)
	v_fmamk_f32 v177, v151, 0x3f5db3d7, v166
	v_fmac_f32_e32 v166, 0xbf5db3d7, v151
	v_fmamk_f32 v178, v149, 0xbf5db3d7, v167
	v_fmac_f32_e32 v167, 0x3f5db3d7, v149
	ds_store_2addr_b64 v139, v[134:135], v[166:167] offset0:200 offset1:251
	v_dual_add_f32 v134, v164, v142 :: v_dual_add_f32 v135, v165, v143
	ds_store_2addr_b64 v239, v[128:129], v[130:131] offset1:51
	ds_store_2addr_b64 v138, v[147:148], v[175:176] offset0:100 offset1:151
	v_dual_add_f32 v130, v194, v144 :: v_dual_add_f32 v131, v195, v145
	v_dual_add_f32 v128, v134, v140 :: v_dual_add_f32 v129, v135, v141
	;; [unrolled: 1-line block ×3, first 2 shown]
	v_dual_sub_f32 v142, v180, v182 :: v_dual_sub_f32 v143, v179, v181
	ds_store_2addr_b64 v239, v[128:129], v[130:131] offset0:102 offset1:153
	ds_load_2addr_b64 v[128:131], v239 offset0:204 offset1:255
	ds_load_2addr_b64 v[164:167], v169 offset0:152 offset1:203
	s_wait_dscnt 0x1
	v_fma_f32 v134, -0.5, v134, v128
	v_fma_f32 v135, -0.5, v135, v129
	v_dual_add_f32 v128, v128, v179 :: v_dual_add_f32 v129, v129, v180
	s_delay_alu instid0(VALU_DEP_3) | instskip(NEXT) | instid1(VALU_DEP_2)
	v_fmamk_f32 v140, v142, 0x3f5db3d7, v134
	v_dual_fmamk_f32 v141, v143, 0xbf5db3d7, v135 :: v_dual_add_f32 v128, v128, v181
	s_delay_alu instid0(VALU_DEP_3) | instskip(SKIP_4) | instid1(VALU_DEP_1)
	v_add_f32_e32 v129, v129, v182
	v_fmac_f32_e32 v134, 0xbf5db3d7, v142
	v_fmac_f32_e32 v135, 0x3f5db3d7, v143
	ds_store_2addr_b64 v138, v[177:178], v[140:141] offset0:202 offset1:253
	v_dual_add_f32 v140, v130, v184 :: v_dual_add_f32 v141, v131, v185
	v_dual_add_f32 v140, v140, v146 :: v_dual_add_f32 v141, v141, v183
	ds_store_2addr_b64 v239, v[128:129], v[140:141] offset0:204 offset1:255
	ds_load_b64 v[128:129], v239 offset:13056
	s_wait_dscnt 0x0
	v_mul_f32_e32 v140, v129, v127
	v_mul_f32_e32 v176, v128, v127
	s_delay_alu instid0(VALU_DEP_2)
	v_fma_f32 v175, v128, v126, -v140
	v_add_f32_e32 v128, v184, v146
	v_sub_f32_e32 v140, v184, v146
	ds_load_2addr_b64 v[144:147], v169 offset0:50 offset1:101
	v_fmac_f32_e32 v176, v129, v126
	v_sub_f32_e32 v129, v185, v183
	v_fma_f32 v130, -0.5, v128, v130
	v_add_f32_e32 v128, v185, v183
	s_delay_alu instid0(VALU_DEP_1) | instskip(NEXT) | instid1(VALU_DEP_1)
	v_dual_fmac_f32 v131, -0.5, v128 :: v_dual_fmamk_f32 v128, v129, 0x3f5db3d7, v130
	v_dual_fmac_f32 v130, 0xbf5db3d7, v129 :: v_dual_fmamk_f32 v129, v140, 0xbf5db3d7, v131
	s_wait_dscnt 0x0
	v_dual_fmac_f32 v131, 0x3f5db3d7, v140 :: v_dual_add_f32 v140, v145, v187
	v_add_f32_e32 v142, v144, v186
	ds_store_2addr_b64 v156, v[134:135], v[130:131] offset0:46 offset1:97
	v_add_f32_e32 v134, v187, v189
	v_sub_f32_e32 v135, v187, v189
	v_dual_add_f32 v141, v140, v189 :: v_dual_add_f32 v140, v142, v188
	v_add_f32_e32 v142, v186, v188
	s_delay_alu instid0(VALU_DEP_4) | instskip(SKIP_1) | instid1(VALU_DEP_3)
	v_fma_f32 v145, -0.5, v134, v145
	v_sub_f32_e32 v134, v186, v188
	v_fma_f32 v144, -0.5, v142, v144
	s_delay_alu instid0(VALU_DEP_2) | instskip(SKIP_1) | instid1(VALU_DEP_3)
	v_fmamk_f32 v143, v134, 0xbf5db3d7, v145
	v_dual_fmac_f32 v145, 0x3f5db3d7, v134 :: v_dual_add_f32 v134, v150, v137
	v_fmamk_f32 v142, v135, 0x3f5db3d7, v144
	v_dual_fmac_f32 v144, 0xbf5db3d7, v135 :: v_dual_sub_f32 v135, v150, v137
	ds_store_2addr_b64 v157, v[128:129], v[142:143] offset0:48 offset1:99
	v_dual_add_f32 v128, v132, v171 :: v_dual_add_f32 v129, v133, v172
	s_delay_alu instid0(VALU_DEP_1) | instskip(SKIP_1) | instid1(VALU_DEP_3)
	v_add_f32_e32 v148, v128, v175
	v_add_f32_e32 v128, v152, v136
	;; [unrolled: 1-line block ×4, first 2 shown]
	s_delay_alu instid0(VALU_DEP_3) | instskip(SKIP_2) | instid1(VALU_DEP_4)
	v_fma_f32 v146, -0.5, v128, v146
	v_add_f32_e32 v128, v147, v150
	v_dual_fmac_f32 v147, -0.5, v134 :: v_dual_add_f32 v134, v165, v160
	v_dual_add_f32 v150, v129, v136 :: v_dual_add_f32 v129, v160, v161
	s_delay_alu instid0(VALU_DEP_3)
	v_add_f32_e32 v151, v128, v137
	v_sub_f32_e32 v128, v152, v136
	v_fmamk_f32 v152, v135, 0x3f5db3d7, v146
	v_dual_fmac_f32 v146, 0xbf5db3d7, v135 :: v_dual_sub_f32 v135, v160, v161
	v_add_f32_e32 v136, v164, v153
	v_dual_add_f32 v161, v134, v161 :: v_dual_add_f32 v134, v153, v162
	v_fma_f32 v137, -0.5, v129, v165
	v_sub_f32_e32 v129, v153, v162
	s_delay_alu instid0(VALU_DEP_4)
	v_add_f32_e32 v160, v136, v162
	v_fmamk_f32 v153, v128, 0xbf5db3d7, v147
	v_fma_f32 v136, -0.5, v134, v164
	v_dual_fmac_f32 v147, 0x3f5db3d7, v128 :: v_dual_add_f32 v128, v170, v154
	v_add_f32_e32 v164, v163, v155
	v_sub_f32_e32 v165, v163, v155
	s_delay_alu instid0(VALU_DEP_4)
	v_fmamk_f32 v134, v135, 0x3f5db3d7, v136
	v_dual_fmac_f32 v136, 0xbf5db3d7, v135 :: v_dual_fmamk_f32 v135, v129, 0xbf5db3d7, v137
	v_fmac_f32_e32 v137, 0x3f5db3d7, v129
	v_add_f32_e32 v129, v166, v170
	v_fma_f32 v166, -0.5, v128, v166
	v_dual_add_f32 v128, v167, v163 :: v_dual_fmac_f32 v167, -0.5, v164
	ds_store_2addr_b64 v168, v[148:149], v[173:174] offset0:126 offset1:177
	v_dual_add_f32 v162, v129, v154 :: v_dual_add_f32 v129, v171, v175
	v_dual_add_f32 v163, v128, v155 :: v_dual_sub_f32 v128, v170, v154
	v_sub_f32_e32 v155, v172, v176
	v_lshlrev_b32_e32 v170, 3, v236
	s_delay_alu instid0(VALU_DEP_4) | instskip(SKIP_3) | instid1(VALU_DEP_3)
	v_fma_f32 v132, -0.5, v129, v132
	v_dual_add_f32 v129, v172, v176 :: v_dual_fmamk_f32 v164, v165, 0x3f5db3d7, v166
	v_dual_fmac_f32 v166, 0xbf5db3d7, v165 :: v_dual_fmamk_f32 v165, v128, 0xbf5db3d7, v167
	v_fmac_f32_e32 v167, 0x3f5db3d7, v128
	v_fmac_f32_e32 v133, -0.5, v129
	v_sub_f32_e32 v129, v171, v175
	v_fmamk_f32 v154, v155, 0x3f5db3d7, v132
	s_delay_alu instid0(VALU_DEP_2)
	v_dual_fmac_f32 v132, 0xbf5db3d7, v155 :: v_dual_fmamk_f32 v155, v129, 0xbf5db3d7, v133
	v_fmac_f32_e32 v133, 0x3f5db3d7, v129
	ds_store_2addr_b64 v169, v[140:141], v[150:151] offset0:50 offset1:101
	ds_store_2addr_b64 v156, v[144:145], v[146:147] offset0:148 offset1:199
	;; [unrolled: 1-line block ×6, first 2 shown]
	ds_store_b64 v239, v[132:133] offset:13056
	global_wb scope:SCOPE_SE
	s_wait_dscnt 0x0
	s_barrier_signal -1
	s_barrier_wait -1
	global_inv scope:SCOPE_SE
	s_clause 0x3
	global_load_b64 v[128:129], v[200:201], off offset:13464
	global_load_b64 v[175:176], v170, s[0:1] offset:792
	global_load_b64 v[177:178], v170, s[0:1] offset:1584
	;; [unrolled: 1-line block ×3, first 2 shown]
	ds_load_2addr_b64 v[171:174], v239 offset1:99
	s_wait_loadcnt_dscnt 0x300
	v_mul_f32_e32 v181, v172, v129
	s_wait_loadcnt 0x2
	v_dual_mul_f32 v182, v171, v129 :: v_dual_mul_f32 v129, v173, v176
	s_delay_alu instid0(VALU_DEP_2) | instskip(NEXT) | instid1(VALU_DEP_2)
	v_fma_f32 v181, v171, v128, -v181
	v_fmac_f32_e32 v182, v172, v128
	v_mul_f32_e32 v128, v174, v176
	s_delay_alu instid0(VALU_DEP_4) | instskip(NEXT) | instid1(VALU_DEP_2)
	v_fmac_f32_e32 v129, v174, v175
	v_fma_f32 v128, v173, v175, -v128
	ds_store_2addr_b64 v239, v[181:182], v[128:129] offset1:99
	v_add_nc_u32_e32 v128, 0x400, v239
	ds_load_2addr_b64 v[171:174], v128 offset0:70 offset1:169
	s_wait_loadcnt_dscnt 0x100
	v_mul_f32_e32 v129, v172, v178
	v_mul_f32_e32 v176, v171, v178
	s_wait_loadcnt 0x0
	v_mul_f32_e32 v178, v173, v180
	s_delay_alu instid0(VALU_DEP_3) | instskip(NEXT) | instid1(VALU_DEP_3)
	v_fma_f32 v175, v171, v177, -v129
	v_dual_mul_f32 v129, v174, v180 :: v_dual_fmac_f32 v176, v172, v177
	s_delay_alu instid0(VALU_DEP_3) | instskip(NEXT) | instid1(VALU_DEP_2)
	v_fmac_f32_e32 v178, v174, v179
	v_fma_f32 v177, v173, v179, -v129
	s_clause 0x3
	global_load_b64 v[179:180], v170, s[0:1] offset:3168
	global_load_b64 v[181:182], v170, s[0:1] offset:3960
	;; [unrolled: 1-line block ×4, first 2 shown]
	ds_load_2addr_b64 v[171:174], v169 offset0:140 offset1:239
	s_wait_loadcnt_dscnt 0x300
	v_mul_f32_e32 v129, v172, v180
	v_mul_f32_e32 v188, v171, v180
	s_wait_loadcnt 0x2
	v_mul_f32_e32 v180, v173, v182
	s_delay_alu instid0(VALU_DEP_3) | instskip(NEXT) | instid1(VALU_DEP_3)
	v_fma_f32 v187, v171, v179, -v129
	v_dual_mul_f32 v129, v174, v182 :: v_dual_fmac_f32 v188, v172, v179
	s_delay_alu instid0(VALU_DEP_3) | instskip(NEXT) | instid1(VALU_DEP_2)
	v_fmac_f32_e32 v180, v174, v181
	v_fma_f32 v179, v173, v181, -v129
	ds_load_2addr_b64 v[171:174], v138 offset0:82 offset1:181
	s_wait_loadcnt_dscnt 0x100
	v_mul_f32_e32 v129, v172, v184
	v_mul_f32_e32 v182, v171, v184
	s_wait_loadcnt 0x0
	v_mul_f32_e32 v184, v173, v186
	s_delay_alu instid0(VALU_DEP_3) | instskip(NEXT) | instid1(VALU_DEP_3)
	v_fma_f32 v181, v171, v183, -v129
	v_dual_mul_f32 v129, v174, v186 :: v_dual_fmac_f32 v182, v172, v183
	s_delay_alu instid0(VALU_DEP_3) | instskip(NEXT) | instid1(VALU_DEP_2)
	v_fmac_f32_e32 v184, v174, v185
	v_fma_f32 v183, v173, v185, -v129
	s_clause 0x3
	global_load_b64 v[185:186], v170, s[0:1] offset:6336
	global_load_b64 v[189:190], v170, s[0:1] offset:7128
	;; [unrolled: 1-line block ×4, first 2 shown]
	ds_load_2addr_b64 v[171:174], v157 offset0:24 offset1:123
	s_wait_loadcnt_dscnt 0x300
	v_mul_f32_e32 v129, v172, v186
	v_mul_f32_e32 v196, v171, v186
	s_wait_loadcnt 0x2
	v_mul_f32_e32 v186, v173, v190
	s_delay_alu instid0(VALU_DEP_3) | instskip(NEXT) | instid1(VALU_DEP_3)
	v_fma_f32 v195, v171, v185, -v129
	v_dual_mul_f32 v129, v174, v190 :: v_dual_fmac_f32 v196, v172, v185
	s_delay_alu instid0(VALU_DEP_3) | instskip(NEXT) | instid1(VALU_DEP_2)
	v_fmac_f32_e32 v186, v174, v189
	v_fma_f32 v185, v173, v189, -v129
	ds_load_2addr_b64 v[171:174], v158 offset0:94 offset1:193
	s_wait_loadcnt_dscnt 0x100
	v_mul_f32_e32 v129, v172, v192
	v_mul_f32_e32 v190, v171, v192
	s_wait_loadcnt 0x0
	v_mul_f32_e32 v192, v173, v194
	s_delay_alu instid0(VALU_DEP_3) | instskip(NEXT) | instid1(VALU_DEP_3)
	v_fma_f32 v189, v171, v191, -v129
	v_dual_mul_f32 v129, v174, v194 :: v_dual_fmac_f32 v190, v172, v191
	s_delay_alu instid0(VALU_DEP_3) | instskip(NEXT) | instid1(VALU_DEP_2)
	v_fmac_f32_e32 v192, v174, v193
	v_fma_f32 v191, v173, v193, -v129
	s_clause 0x3
	global_load_b64 v[193:194], v170, s[0:1] offset:9504
	global_load_b64 v[197:198], v170, s[0:1] offset:10296
	;; [unrolled: 1-line block ×4, first 2 shown]
	v_add_nc_u32_e32 v129, 0x2400, v239
	ds_load_2addr_b64 v[171:174], v129 offset0:36 offset1:135
	s_wait_loadcnt_dscnt 0x300
	v_mul_f32_e32 v199, v172, v194
	v_mul_f32_e32 v248, v171, v194
	s_wait_loadcnt 0x2
	v_mul_f32_e32 v194, v173, v198
	s_delay_alu instid0(VALU_DEP_3) | instskip(NEXT) | instid1(VALU_DEP_3)
	v_fma_f32 v247, v171, v193, -v199
	v_dual_mul_f32 v171, v174, v198 :: v_dual_fmac_f32 v248, v172, v193
	s_delay_alu instid0(VALU_DEP_3) | instskip(NEXT) | instid1(VALU_DEP_2)
	v_fmac_f32_e32 v194, v174, v197
	v_fma_f32 v193, v173, v197, -v171
	ds_load_2addr_b64 v[171:174], v156 offset0:106 offset1:205
	ds_store_2addr_b64 v128, v[175:176], v[177:178] offset0:70 offset1:169
	ds_store_2addr_b64 v169, v[187:188], v[179:180] offset0:140 offset1:239
	;; [unrolled: 1-line block ×3, first 2 shown]
	ds_load_b64 v[175:176], v239 offset:12672
	s_wait_loadcnt_dscnt 0x104
	v_mul_f32_e32 v197, v172, v244
	v_mul_f32_e32 v198, v171, v244
	s_delay_alu instid0(VALU_DEP_2) | instskip(SKIP_1) | instid1(VALU_DEP_2)
	v_fma_f32 v197, v171, v243, -v197
	s_wait_loadcnt 0x0
	v_dual_fmac_f32 v198, v172, v243 :: v_dual_mul_f32 v171, v174, v246
	v_mul_f32_e32 v172, v173, v246
	s_delay_alu instid0(VALU_DEP_2) | instskip(NEXT) | instid1(VALU_DEP_2)
	v_fma_f32 v171, v173, v245, -v171
	v_fmac_f32_e32 v172, v174, v245
	global_load_b64 v[173:174], v170, s[0:1] offset:12672
	s_wait_loadcnt_dscnt 0x0
	v_mul_f32_e32 v177, v176, v174
	v_mul_f32_e32 v178, v175, v174
	s_delay_alu instid0(VALU_DEP_2) | instskip(NEXT) | instid1(VALU_DEP_2)
	v_fma_f32 v177, v175, v173, -v177
	v_fmac_f32_e32 v178, v176, v173
	ds_store_2addr_b64 v157, v[195:196], v[185:186] offset0:24 offset1:123
	ds_store_2addr_b64 v158, v[189:190], v[191:192] offset0:94 offset1:193
	;; [unrolled: 1-line block ×4, first 2 shown]
	ds_store_b64 v239, v[177:178] offset:12672
	s_and_saveexec_b32 s2, vcc_lo
	s_cbranch_execz .LBB0_9
; %bb.8:
	s_wait_alu 0xfffe
	v_add_co_u32 v174, s0, s0, v170
	s_wait_alu 0xf1ff
	v_add_co_ci_u32_e64 v175, null, s1, 0, s0
	s_clause 0xb
	global_load_b64 v[176:177], v[174:175], off offset:408
	global_load_b64 v[178:179], v[174:175], off offset:1200
	;; [unrolled: 1-line block ×12, first 2 shown]
	ds_load_2addr_b64 v[170:173], v239 offset0:51 offset1:150
	s_clause 0x1
	global_load_b64 v[243:244], v[174:175], off offset:9912
	global_load_b64 v[245:246], v[174:175], off offset:10704
	s_wait_loadcnt_dscnt 0xd00
	v_mul_f32_e32 v202, v171, v177
	v_mul_f32_e32 v248, v170, v177
	s_wait_loadcnt 0xc
	s_delay_alu instid0(VALU_DEP_1) | instskip(NEXT) | instid1(VALU_DEP_3)
	v_dual_fmac_f32 v248, v171, v176 :: v_dual_mul_f32 v171, v172, v179
	v_fma_f32 v247, v170, v176, -v202
	v_mul_f32_e32 v170, v173, v179
	s_delay_alu instid0(VALU_DEP_3) | instskip(NEXT) | instid1(VALU_DEP_2)
	v_fmac_f32_e32 v171, v173, v178
	v_fma_f32 v170, v172, v178, -v170
	s_clause 0x2
	global_load_b64 v[176:177], v[174:175], off offset:11496
	global_load_b64 v[178:179], v[174:175], off offset:12288
	;; [unrolled: 1-line block ×3, first 2 shown]
	ds_store_2addr_b64 v239, v[247:248], v[170:171] offset0:51 offset1:150
	ds_load_2addr_b64 v[170:173], v128 offset0:121 offset1:220
	s_wait_loadcnt_dscnt 0xe00
	v_mul_f32_e32 v202, v171, v181
	s_wait_loadcnt 0xd
	v_dual_mul_f32 v248, v170, v181 :: v_dual_mul_f32 v181, v172, v183
	s_delay_alu instid0(VALU_DEP_1) | instskip(NEXT) | instid1(VALU_DEP_3)
	v_dual_fmac_f32 v248, v171, v180 :: v_dual_fmac_f32 v181, v173, v182
	v_fma_f32 v247, v170, v180, -v202
	v_mul_f32_e32 v170, v173, v183
	s_delay_alu instid0(VALU_DEP_1)
	v_fma_f32 v180, v172, v182, -v170
	ds_load_2addr_b64 v[170:173], v168 offset0:63 offset1:162
	s_wait_loadcnt_dscnt 0xc00
	v_mul_f32_e32 v182, v171, v185
	v_mul_f32_e32 v183, v170, v185
	s_wait_loadcnt 0xb
	v_mul_f32_e32 v185, v172, v187
	s_delay_alu instid0(VALU_DEP_2) | instskip(NEXT) | instid1(VALU_DEP_2)
	v_fmac_f32_e32 v183, v171, v184
	v_fmac_f32_e32 v185, v173, v186
	v_fma_f32 v182, v170, v184, -v182
	v_mul_f32_e32 v170, v173, v187
	s_delay_alu instid0(VALU_DEP_1)
	v_fma_f32 v184, v172, v186, -v170
	ds_load_2addr_b64 v[170:173], v138 offset0:133 offset1:232
	s_wait_loadcnt_dscnt 0xa00
	v_mul_f32_e32 v186, v171, v189
	v_mul_f32_e32 v187, v170, v189
	s_wait_loadcnt 0x9
	v_mul_f32_e32 v189, v172, v191
	s_delay_alu instid0(VALU_DEP_3) | instskip(NEXT) | instid1(VALU_DEP_3)
	v_fma_f32 v186, v170, v188, -v186
	v_dual_mul_f32 v170, v173, v191 :: v_dual_fmac_f32 v187, v171, v188
	s_delay_alu instid0(VALU_DEP_3) | instskip(NEXT) | instid1(VALU_DEP_2)
	v_fmac_f32_e32 v189, v173, v190
	v_fma_f32 v188, v172, v190, -v170
	ds_load_2addr_b64 v[170:173], v157 offset0:75 offset1:174
	s_wait_loadcnt_dscnt 0x800
	v_mul_f32_e32 v190, v171, v193
	v_mul_f32_e32 v191, v170, v193
	s_wait_loadcnt 0x7
	v_mul_f32_e32 v193, v172, v195
	s_delay_alu instid0(VALU_DEP_3) | instskip(NEXT) | instid1(VALU_DEP_3)
	v_fma_f32 v190, v170, v192, -v190
	v_dual_mul_f32 v170, v173, v195 :: v_dual_fmac_f32 v191, v171, v192
	s_delay_alu instid0(VALU_DEP_3) | instskip(NEXT) | instid1(VALU_DEP_2)
	v_fmac_f32_e32 v193, v173, v194
	;; [unrolled: 12-line block ×3, first 2 shown]
	v_fma_f32 v196, v172, v198, -v170
	ds_load_2addr_b64 v[170:173], v129 offset0:87 offset1:186
	s_wait_loadcnt_dscnt 0x400
	v_mul_f32_e32 v198, v171, v244
	s_wait_loadcnt 0x3
	v_dual_mul_f32 v199, v170, v244 :: v_dual_mul_f32 v244, v172, v246
	s_delay_alu instid0(VALU_DEP_2) | instskip(NEXT) | instid1(VALU_DEP_2)
	v_fma_f32 v198, v170, v243, -v198
	v_dual_mul_f32 v170, v173, v246 :: v_dual_fmac_f32 v199, v171, v243
	s_delay_alu instid0(VALU_DEP_3) | instskip(NEXT) | instid1(VALU_DEP_2)
	v_fmac_f32_e32 v244, v173, v245
	v_fma_f32 v243, v172, v245, -v170
	ds_load_2addr_b64 v[170:173], v159 offset0:29 offset1:128
	s_wait_loadcnt_dscnt 0x200
	v_mul_f32_e32 v246, v170, v177
	v_mul_f32_e32 v202, v171, v177
	s_wait_loadcnt 0x1
	s_delay_alu instid0(VALU_DEP_2) | instskip(NEXT) | instid1(VALU_DEP_2)
	v_dual_fmac_f32 v246, v171, v176 :: v_dual_mul_f32 v171, v172, v179
	v_fma_f32 v245, v170, v176, -v202
	v_mul_f32_e32 v170, v173, v179
	s_delay_alu instid0(VALU_DEP_3) | instskip(NEXT) | instid1(VALU_DEP_2)
	v_fmac_f32_e32 v171, v173, v178
	v_fma_f32 v170, v172, v178, -v170
	ds_load_b64 v[172:173], v239 offset:13080
	s_wait_loadcnt_dscnt 0x0
	v_mul_f32_e32 v176, v172, v175
	v_mul_f32_e32 v177, v173, v175
	s_delay_alu instid0(VALU_DEP_2) | instskip(NEXT) | instid1(VALU_DEP_2)
	v_fmac_f32_e32 v176, v173, v174
	v_fma_f32 v175, v172, v174, -v177
	ds_store_2addr_b64 v128, v[247:248], v[180:181] offset0:121 offset1:220
	ds_store_2addr_b64 v168, v[182:183], v[184:185] offset0:63 offset1:162
	;; [unrolled: 1-line block ×7, first 2 shown]
	ds_store_b64 v239, v[175:176] offset:13080
.LBB0_9:
	s_wait_alu 0xfffe
	s_or_b32 exec_lo, exec_lo, s2
	global_wb scope:SCOPE_SE
	s_wait_dscnt 0x0
	s_barrier_signal -1
	s_barrier_wait -1
	global_inv scope:SCOPE_SE
	ds_load_2addr_b64 v[172:175], v239 offset1:99
	ds_load_2addr_b64 v[176:179], v128 offset0:70 offset1:169
	ds_load_2addr_b64 v[184:187], v169 offset0:140 offset1:239
	;; [unrolled: 1-line block ×7, first 2 shown]
	ds_load_b64 v[128:129], v239 offset:12672
	s_and_saveexec_b32 s0, vcc_lo
	s_cbranch_execz .LBB0_11
; %bb.10:
	ds_load_2addr_b64 v[138:141], v239 offset0:51 offset1:150
	v_add_nc_u32_e32 v131, 0x2c00, v239
	v_add_nc_u32_e32 v130, 0x2400, v239
	ds_load_2addr_b64 v[154:157], v131 offset0:29 offset1:128
	v_add_nc_u32_e32 v132, 0x1000, v239
	ds_load_2addr_b64 v[146:149], v130 offset0:87 offset1:186
	v_add_nc_u32_e32 v131, 0xc00, v239
	v_add_nc_u32_e32 v133, 0x2000, v239
	ds_load_2addr_b64 v[158:161], v132 offset0:133 offset1:232
	v_add_nc_u32_e32 v130, 0x400, v239
	v_add_nc_u32_e32 v132, 0x1800, v239
	s_wait_dscnt 0x1
	v_dual_mov_b32 v166, v146 :: v_dual_mov_b32 v167, v147
	s_wait_dscnt 0x0
	v_mov_b32_e32 v147, v159
	ds_load_b64 v[237:238], v239 offset:13080
	ds_load_2addr_b64 v[142:145], v130 offset0:121 offset1:220
	ds_load_2addr_b64 v[150:153], v131 offset0:63 offset1:162
	;; [unrolled: 1-line block ×4, first 2 shown]
	v_dual_mov_b32 v131, v139 :: v_dual_mov_b32 v130, v138
	v_dual_mov_b32 v132, v156 :: v_dual_mov_b32 v133, v157
	v_mov_b32_e32 v146, v158
.LBB0_11:
	s_wait_alu 0xfffe
	s_or_b32 exec_lo, exec_lo, s0
	s_wait_dscnt 0x8
	v_dual_add_f32 v138, v172, v174 :: v_dual_add_f32 v139, v173, v175
	s_wait_dscnt 0x3
	v_dual_sub_f32 v243, v197, v195 :: v_dual_add_f32 v240, v194, v196
	v_dual_sub_f32 v244, v196, v194 :: v_dual_sub_f32 v245, v199, v193
	s_delay_alu instid0(VALU_DEP_3)
	v_dual_add_f32 v138, v138, v176 :: v_dual_add_f32 v139, v139, v177
	s_wait_dscnt 0x2
	v_dual_add_f32 v246, v195, v197 :: v_dual_sub_f32 v247, v185, v191
	s_wait_dscnt 0x0
	v_dual_sub_f32 v156, v175, v129 :: v_dual_add_f32 v157, v128, v174
	v_dual_add_f32 v138, v138, v178 :: v_dual_add_f32 v139, v139, v179
	global_wb scope:SCOPE_SE
	v_mul_f32_e32 v202, 0xbf763a35, v156
	s_barrier_signal -1
	v_dual_add_f32 v138, v138, v184 :: v_dual_add_f32 v139, v139, v185
	s_barrier_wait -1
	s_delay_alu instid0(VALU_DEP_2) | instskip(SKIP_1) | instid1(VALU_DEP_3)
	v_fmamk_f32 v203, v157, 0xbe8c1d8e, v202
	v_fma_f32 v202, 0xbe8c1d8e, v157, -v202
	v_dual_add_f32 v138, v138, v186 :: v_dual_add_f32 v139, v139, v187
	global_inv scope:SCOPE_SE
	v_mul_f32_e32 v159, 0xbf2c7751, v156
	v_sub_f32_e32 v174, v174, v128
	v_dual_add_f32 v138, v138, v196 :: v_dual_add_f32 v139, v139, v197
	v_dual_add_f32 v197, v192, v198 :: v_dual_sub_f32 v196, v198, v192
	v_add_f32_e32 v254, v172, v202
	s_delay_alu instid0(VALU_DEP_3) | instskip(SKIP_2) | instid1(VALU_DEP_3)
	v_dual_add_f32 v138, v138, v198 :: v_dual_add_f32 v139, v139, v199
	v_dual_add_f32 v199, v193, v199 :: v_dual_add_f32 v198, v191, v185
	v_sub_f32_e32 v185, v186, v188
	v_dual_add_f32 v138, v138, v168 :: v_dual_add_f32 v139, v139, v169
	s_delay_alu instid0(VALU_DEP_1) | instskip(NEXT) | instid1(VALU_DEP_1)
	v_dual_add_f32 v138, v138, v170 :: v_dual_add_f32 v139, v139, v171
	v_dual_add_f32 v138, v138, v192 :: v_dual_add_f32 v139, v139, v193
	v_dual_add_f32 v192, v190, v184 :: v_dual_sub_f32 v193, v184, v190
	v_add_f32_e32 v184, v188, v186
	s_delay_alu instid0(VALU_DEP_3) | instskip(SKIP_2) | instid1(VALU_DEP_3)
	v_dual_add_f32 v138, v138, v194 :: v_dual_add_f32 v139, v139, v195
	v_dual_sub_f32 v194, v187, v189 :: v_dual_add_f32 v187, v189, v187
	v_dual_sub_f32 v195, v177, v183 :: v_dual_add_f32 v186, v182, v176
	v_dual_add_f32 v138, v138, v188 :: v_dual_add_f32 v139, v139, v189
	v_dual_add_f32 v189, v183, v177 :: v_dual_sub_f32 v188, v176, v182
	v_dual_add_f32 v176, v180, v178 :: v_dual_sub_f32 v177, v178, v180
	s_delay_alu instid0(VALU_DEP_3) | instskip(SKIP_2) | instid1(VALU_DEP_3)
	v_dual_add_f32 v138, v138, v190 :: v_dual_add_f32 v139, v139, v191
	v_dual_sub_f32 v190, v179, v181 :: v_dual_add_f32 v179, v181, v179
	v_mul_f32_e32 v178, 0xbf65296c, v156
	v_dual_add_f32 v138, v138, v180 :: v_dual_add_f32 v139, v139, v181
	v_mul_f32_e32 v158, 0xbeb8f4ab, v156
	v_fmamk_f32 v181, v157, 0x3f3d2fb0, v159
	v_mul_f32_e32 v204, 0xbf4c4adb, v156
	s_delay_alu instid0(VALU_DEP_4) | instskip(NEXT) | instid1(VALU_DEP_4)
	v_dual_add_f32 v138, v138, v182 :: v_dual_add_f32 v139, v139, v183
	v_fmamk_f32 v180, v157, 0x3f6eb680, v158
	v_fma_f32 v158, 0x3f6eb680, v157, -v158
	v_mul_f32_e32 v183, 0xbf7ee86f, v156
	v_mul_f32_e32 v205, 0xbf06c442, v156
	v_mul_f32_e32 v156, 0xbe3c28d5, v156
	v_fma_f32 v159, 0x3f3d2fb0, v157, -v159
	v_fmamk_f32 v182, v157, 0x3ee437d1, v178
	v_fma_f32 v178, 0x3ee437d1, v157, -v178
	v_fmamk_f32 v191, v157, 0x3dbcf732, v183
	;; [unrolled: 2-line block ×3, first 2 shown]
	v_fma_f32 v156, 0xbf7ba420, v157, -v156
	v_dual_add_f32 v158, v172, v158 :: v_dual_fmamk_f32 v207, v157, 0xbf59a7d5, v205
	v_add_f32_e32 v222, v172, v159
	v_fma_f32 v205, 0xbf59a7d5, v157, -v205
	v_dual_add_f32 v221, v172, v181 :: v_dual_fmamk_f32 v206, v157, 0xbf1a4643, v204
	v_fma_f32 v204, 0xbf1a4643, v157, -v204
	v_add_f32_e32 v157, v129, v175
	v_add_f32_e32 v226, v172, v183
	v_dual_add_f32 v224, v172, v178 :: v_dual_sub_f32 v181, v169, v171
	v_mul_f32_e32 v202, 0xbf7ee86f, v247
	s_delay_alu instid0(VALU_DEP_4)
	v_mul_f32_e32 v242, 0xbe8c1d8e, v157
	v_mul_f32_e32 v214, 0x3dbcf732, v157
	;; [unrolled: 1-line block ×4, first 2 shown]
	v_dual_mul_f32 v212, 0x3ee437d1, v157 :: v_dual_add_f32 v225, v172, v191
	v_dual_fmamk_f32 v216, v174, 0x3f763a35, v242 :: v_dual_add_f32 v227, v172, v203
	v_fmac_f32_e32 v242, 0xbf763a35, v174
	v_mul_f32_e32 v248, 0xbf1a4643, v157
	v_fmamk_f32 v215, v174, 0x3f7ee86f, v214
	v_fmac_f32_e32 v214, 0xbf7ee86f, v174
	v_mul_f32_e32 v255, 0xbf59a7d5, v157
	v_mul_f32_e32 v157, 0xbf7ba420, v157
	v_dual_fmamk_f32 v249, v174, 0x3f4c4adb, v248 :: v_dual_add_f32 v216, v173, v216
	v_fmamk_f32 v209, v174, 0x3eb8f4ab, v175
	v_fmamk_f32 v211, v174, 0x3f2c7751, v210
	;; [unrolled: 1-line block ×3, first 2 shown]
	v_dual_fmac_f32 v212, 0xbf65296c, v174 :: v_dual_add_f32 v215, v173, v215
	v_fmac_f32_e32 v175, 0xbeb8f4ab, v174
	v_dual_add_f32 v219, v172, v180 :: v_dual_add_f32 v214, v173, v214
	s_delay_alu instid0(VALU_DEP_3) | instskip(SKIP_2) | instid1(VALU_DEP_3)
	v_dual_add_f32 v212, v173, v212 :: v_dual_fmamk_f32 v217, v174, 0x3f06c442, v255
	v_dual_fmac_f32 v255, 0xbf06c442, v174 :: v_dual_add_f32 v250, v173, v249
	v_dual_fmamk_f32 v218, v174, 0x3e3c28d5, v157 :: v_dual_add_f32 v249, v172, v204
	v_add_f32_e32 v183, v173, v217
	v_add_f32_e32 v253, v173, v242
	v_dual_fmac_f32 v248, 0xbf4c4adb, v174 :: v_dual_add_f32 v191, v172, v207
	v_add_f32_e32 v128, v138, v128
	v_mul_f32_e32 v138, 0xbf2c7751, v195
	v_dual_fmac_f32 v157, 0xbe3c28d5, v174 :: v_dual_add_f32 v220, v173, v175
	v_dual_add_f32 v211, v173, v211 :: v_dual_fmac_f32 v210, 0xbf2c7751, v174
	v_add_f32_e32 v213, v173, v213
	v_add_f32_e32 v223, v172, v182
	;; [unrolled: 1-line block ×3, first 2 shown]
	v_dual_add_f32 v248, v173, v248 :: v_dual_add_f32 v129, v139, v129
	v_add_f32_e32 v180, v172, v205
	v_dual_add_f32 v178, v173, v255 :: v_dual_add_f32 v175, v172, v208
	v_add_f32_e32 v174, v173, v218
	v_dual_add_f32 v172, v172, v156 :: v_dual_fmamk_f32 v139, v186, 0x3f3d2fb0, v138
	v_dual_add_f32 v182, v171, v169 :: v_dual_add_f32 v171, v170, v168
	v_dual_sub_f32 v170, v168, v170 :: v_dual_mul_f32 v159, 0x3f3d2fb0, v189
	v_dual_mul_f32 v168, 0xbf65296c, v190 :: v_dual_add_f32 v209, v173, v209
	v_add_f32_e32 v210, v173, v210
	v_add_f32_e32 v173, v173, v157
	;; [unrolled: 1-line block ×3, first 2 shown]
	s_delay_alu instid0(VALU_DEP_4) | instskip(SKIP_3) | instid1(VALU_DEP_4)
	v_fmamk_f32 v157, v176, 0x3ee437d1, v168
	v_fmamk_f32 v156, v188, 0x3f2c7751, v159
	v_mul_f32_e32 v169, 0x3ee437d1, v179
	v_fmac_f32_e32 v159, 0xbf2c7751, v188
	v_dual_mul_f32 v208, 0xbf06c442, v245 :: v_dual_add_f32 v139, v157, v139
	s_delay_alu instid0(VALU_DEP_3) | instskip(SKIP_2) | instid1(VALU_DEP_3)
	v_dual_add_f32 v156, v156, v209 :: v_dual_fmamk_f32 v157, v177, 0x3f65296c, v169
	v_fmac_f32_e32 v169, 0xbf65296c, v177
	v_mul_f32_e32 v209, 0xbf59a7d5, v199
	v_dual_mul_f32 v217, 0xbe3c28d5, v181 :: v_dual_add_f32 v156, v157, v156
	v_fmamk_f32 v157, v192, 0x3dbcf732, v202
	v_mul_f32_e32 v203, 0x3dbcf732, v198
	s_delay_alu instid0(VALU_DEP_2) | instskip(NEXT) | instid1(VALU_DEP_2)
	v_add_f32_e32 v139, v157, v139
	v_fmamk_f32 v157, v193, 0x3f7ee86f, v203
	v_mul_f32_e32 v204, 0xbf763a35, v194
	s_delay_alu instid0(VALU_DEP_1) | instskip(SKIP_2) | instid1(VALU_DEP_3)
	v_dual_add_f32 v156, v157, v156 :: v_dual_fmamk_f32 v157, v184, 0xbe8c1d8e, v204
	v_mul_f32_e32 v205, 0xbe8c1d8e, v187
	v_fmac_f32_e32 v203, 0xbf7ee86f, v193
	v_add_f32_e32 v139, v157, v139
	s_delay_alu instid0(VALU_DEP_3) | instskip(NEXT) | instid1(VALU_DEP_1)
	v_fmamk_f32 v157, v185, 0x3f763a35, v205
	v_dual_add_f32 v156, v157, v156 :: v_dual_mul_f32 v207, 0xbf1a4643, v246
	v_mul_f32_e32 v206, 0xbf4c4adb, v243
	v_fmac_f32_e32 v205, 0xbf763a35, v185
	s_delay_alu instid0(VALU_DEP_2) | instskip(NEXT) | instid1(VALU_DEP_1)
	v_fmamk_f32 v157, v240, 0xbf1a4643, v206
	v_add_f32_e32 v139, v157, v139
	v_fmamk_f32 v157, v244, 0x3f4c4adb, v207
	s_delay_alu instid0(VALU_DEP_1) | instskip(SKIP_2) | instid1(VALU_DEP_2)
	v_add_f32_e32 v156, v157, v156
	v_fmamk_f32 v157, v197, 0xbf59a7d5, v208
	v_fmac_f32_e32 v207, 0xbf4c4adb, v244
	v_add_f32_e32 v139, v157, v139
	v_fmamk_f32 v157, v196, 0x3f06c442, v209
	s_delay_alu instid0(VALU_DEP_1) | instskip(SKIP_1) | instid1(VALU_DEP_2)
	v_dual_add_f32 v157, v157, v156 :: v_dual_fmamk_f32 v156, v171, 0xbf7ba420, v217
	v_fma_f32 v138, 0x3f3d2fb0, v186, -v138
	v_dual_add_f32 v156, v156, v139 :: v_dual_mul_f32 v139, 0xbf7ba420, v182
	s_delay_alu instid0(VALU_DEP_2) | instskip(SKIP_2) | instid1(VALU_DEP_4)
	v_add_f32_e32 v138, v138, v158
	v_add_f32_e32 v158, v159, v220
	v_fma_f32 v159, 0x3ee437d1, v176, -v168
	v_fmamk_f32 v218, v170, 0x3e3c28d5, v139
	v_fmac_f32_e32 v139, 0xbe3c28d5, v170
	s_delay_alu instid0(VALU_DEP_2) | instskip(SKIP_2) | instid1(VALU_DEP_2)
	v_dual_add_f32 v138, v159, v138 :: v_dual_add_f32 v157, v218, v157
	v_fma_f32 v159, 0x3dbcf732, v192, -v202
	v_mul_f32_e32 v202, 0xbf4c4adb, v190
	v_add_f32_e32 v138, v159, v138
	v_fma_f32 v159, 0xbe8c1d8e, v184, -v204
	s_delay_alu instid0(VALU_DEP_1) | instskip(SKIP_1) | instid1(VALU_DEP_1)
	v_add_f32_e32 v138, v159, v138
	v_fma_f32 v159, 0xbf1a4643, v240, -v206
	v_add_f32_e32 v138, v159, v138
	v_fma_f32 v159, 0xbf59a7d5, v197, -v208
	s_delay_alu instid0(VALU_DEP_1) | instskip(SKIP_4) | instid1(VALU_DEP_4)
	v_add_f32_e32 v138, v159, v138
	v_add_f32_e32 v158, v169, v158
	v_fma_f32 v159, 0xbf7ba420, v171, -v217
	v_mul_f32_e32 v169, 0x3dbcf732, v189
	v_mul_f32_e32 v168, 0xbf7ee86f, v195
	v_add_f32_e32 v158, v203, v158
	s_delay_alu instid0(VALU_DEP_4) | instskip(SKIP_1) | instid1(VALU_DEP_3)
	v_dual_add_f32 v138, v159, v138 :: v_dual_fmamk_f32 v203, v176, 0xbf1a4643, v202
	v_fmac_f32_e32 v209, 0xbf06c442, v196
	v_dual_fmamk_f32 v159, v188, 0x3f7ee86f, v169 :: v_dual_add_f32 v158, v205, v158
	v_fmac_f32_e32 v169, 0xbf7ee86f, v188
	s_delay_alu instid0(VALU_DEP_2) | instskip(NEXT) | instid1(VALU_DEP_3)
	v_add_f32_e32 v159, v159, v211
	v_add_f32_e32 v158, v207, v158
	s_delay_alu instid0(VALU_DEP_3) | instskip(NEXT) | instid1(VALU_DEP_2)
	v_add_f32_e32 v169, v169, v210
	v_add_f32_e32 v158, v209, v158
	s_delay_alu instid0(VALU_DEP_1) | instskip(SKIP_1) | instid1(VALU_DEP_2)
	v_dual_add_f32 v139, v139, v158 :: v_dual_fmamk_f32 v158, v186, 0x3dbcf732, v168
	v_fma_f32 v168, 0x3dbcf732, v186, -v168
	v_add_f32_e32 v158, v158, v221
	s_delay_alu instid0(VALU_DEP_1) | instskip(NEXT) | instid1(VALU_DEP_3)
	v_dual_add_f32 v158, v203, v158 :: v_dual_mul_f32 v203, 0xbf1a4643, v179
	v_add_f32_e32 v168, v168, v222
	s_delay_alu instid0(VALU_DEP_2) | instskip(NEXT) | instid1(VALU_DEP_1)
	v_fmamk_f32 v204, v177, 0x3f4c4adb, v203
	v_add_f32_e32 v159, v204, v159
	v_mul_f32_e32 v204, 0xbe3c28d5, v247
	v_fma_f32 v202, 0xbf1a4643, v176, -v202
	s_delay_alu instid0(VALU_DEP_1) | instskip(SKIP_2) | instid1(VALU_DEP_3)
	v_dual_fmamk_f32 v205, v192, 0xbf7ba420, v204 :: v_dual_add_f32 v168, v202, v168
	v_fma_f32 v202, 0xbf7ba420, v192, -v204
	v_mul_f32_e32 v204, 0xbf4c4adb, v195
	v_add_f32_e32 v158, v205, v158
	s_delay_alu instid0(VALU_DEP_3) | instskip(NEXT) | instid1(VALU_DEP_1)
	v_dual_mul_f32 v205, 0xbf7ba420, v198 :: v_dual_add_f32 v168, v202, v168
	v_fmamk_f32 v206, v193, 0x3e3c28d5, v205
	v_fmac_f32_e32 v205, 0xbe3c28d5, v193
	s_delay_alu instid0(VALU_DEP_2) | instskip(NEXT) | instid1(VALU_DEP_1)
	v_dual_add_f32 v159, v206, v159 :: v_dual_mul_f32 v206, 0x3f06c442, v194
	v_fmamk_f32 v207, v184, 0xbf59a7d5, v206
	s_delay_alu instid0(VALU_DEP_1) | instskip(NEXT) | instid1(VALU_DEP_1)
	v_dual_add_f32 v158, v207, v158 :: v_dual_mul_f32 v207, 0xbf59a7d5, v187
	v_fmamk_f32 v208, v185, 0xbf06c442, v207
	s_delay_alu instid0(VALU_DEP_1) | instskip(SKIP_1) | instid1(VALU_DEP_1)
	v_add_f32_e32 v159, v208, v159
	v_mul_f32_e32 v208, 0x3f763a35, v243
	v_fmamk_f32 v209, v240, 0xbe8c1d8e, v208
	s_delay_alu instid0(VALU_DEP_1) | instskip(SKIP_1) | instid1(VALU_DEP_1)
	v_add_f32_e32 v158, v209, v158
	v_mul_f32_e32 v209, 0xbe8c1d8e, v246
	v_fmamk_f32 v211, v244, 0xbf763a35, v209
	s_delay_alu instid0(VALU_DEP_1) | instskip(SKIP_3) | instid1(VALU_DEP_2)
	v_add_f32_e32 v159, v211, v159
	v_mul_f32_e32 v211, 0x3f65296c, v245
	v_fma_f32 v202, 0xbf59a7d5, v184, -v206
	v_mul_f32_e32 v206, 0x3e3c28d5, v190
	v_dual_fmamk_f32 v217, v197, 0x3ee437d1, v211 :: v_dual_add_f32 v168, v202, v168
	v_fma_f32 v202, 0xbe8c1d8e, v240, -v208
	s_delay_alu instid0(VALU_DEP_2) | instskip(SKIP_1) | instid1(VALU_DEP_3)
	v_dual_fmac_f32 v207, 0x3f06c442, v185 :: v_dual_add_f32 v158, v217, v158
	v_mul_f32_e32 v217, 0x3ee437d1, v199
	v_dual_fmac_f32 v203, 0xbf4c4adb, v177 :: v_dual_add_f32 v168, v202, v168
	v_fma_f32 v202, 0x3ee437d1, v197, -v211
	s_delay_alu instid0(VALU_DEP_2) | instskip(NEXT) | instid1(VALU_DEP_2)
	v_dual_fmamk_f32 v218, v196, 0xbf65296c, v217 :: v_dual_add_f32 v169, v203, v169
	v_add_f32_e32 v168, v202, v168
	v_fmac_f32_e32 v209, 0x3f763a35, v244
	s_delay_alu instid0(VALU_DEP_3) | instskip(NEXT) | instid1(VALU_DEP_4)
	v_dual_add_f32 v159, v218, v159 :: v_dual_mul_f32 v218, 0x3eb8f4ab, v181
	v_add_f32_e32 v169, v205, v169
	v_mul_f32_e32 v205, 0xbf1a4643, v189
	s_delay_alu instid0(VALU_DEP_3) | instskip(NEXT) | instid1(VALU_DEP_3)
	v_fmamk_f32 v219, v171, 0x3f6eb680, v218
	v_add_f32_e32 v169, v207, v169
	v_fmamk_f32 v207, v176, 0xbf7ba420, v206
	v_fma_f32 v206, 0xbf7ba420, v176, -v206
	s_delay_alu instid0(VALU_DEP_4) | instskip(SKIP_1) | instid1(VALU_DEP_1)
	v_add_f32_e32 v158, v219, v158
	v_mul_f32_e32 v219, 0x3f6eb680, v182
	v_fmamk_f32 v220, v170, 0xbeb8f4ab, v219
	s_delay_alu instid0(VALU_DEP_1) | instskip(SKIP_1) | instid1(VALU_DEP_1)
	v_add_f32_e32 v159, v220, v159
	v_fma_f32 v202, 0x3f6eb680, v171, -v218
	v_add_f32_e32 v168, v202, v168
	v_fmamk_f32 v202, v186, 0xbf1a4643, v204
	v_fma_f32 v204, 0xbf1a4643, v186, -v204
	s_delay_alu instid0(VALU_DEP_2) | instskip(NEXT) | instid1(VALU_DEP_2)
	v_add_f32_e32 v202, v202, v223
	v_dual_add_f32 v204, v204, v224 :: v_dual_fmac_f32 v219, 0x3eb8f4ab, v170
	s_delay_alu instid0(VALU_DEP_2) | instskip(NEXT) | instid1(VALU_DEP_2)
	v_add_f32_e32 v202, v207, v202
	v_dual_add_f32 v204, v206, v204 :: v_dual_fmamk_f32 v203, v188, 0x3f4c4adb, v205
	v_mul_f32_e32 v207, 0xbf7ba420, v179
	v_fmac_f32_e32 v205, 0xbf4c4adb, v188
	s_delay_alu instid0(VALU_DEP_2) | instskip(NEXT) | instid1(VALU_DEP_2)
	v_dual_add_f32 v203, v203, v213 :: v_dual_fmamk_f32 v208, v177, 0xbe3c28d5, v207
	v_add_f32_e32 v205, v205, v212
	s_delay_alu instid0(VALU_DEP_2) | instskip(SKIP_1) | instid1(VALU_DEP_1)
	v_add_f32_e32 v203, v208, v203
	v_dual_mul_f32 v208, 0x3f763a35, v247 :: v_dual_add_f32 v169, v209, v169
	v_fmamk_f32 v209, v192, 0xbe8c1d8e, v208
	v_fma_f32 v206, 0xbe8c1d8e, v192, -v208
	v_mul_f32_e32 v208, 0xbe3c28d5, v195
	s_delay_alu instid0(VALU_DEP_3) | instskip(SKIP_3) | instid1(VALU_DEP_3)
	v_add_f32_e32 v202, v209, v202
	v_mul_f32_e32 v209, 0xbe8c1d8e, v198
	v_fmac_f32_e32 v217, 0x3f65296c, v196
	v_add_f32_e32 v204, v206, v204
	v_fmamk_f32 v210, v193, 0xbf763a35, v209
	s_delay_alu instid0(VALU_DEP_1) | instskip(NEXT) | instid1(VALU_DEP_4)
	v_dual_add_f32 v203, v210, v203 :: v_dual_mul_f32 v210, 0x3f2c7751, v194
	v_add_f32_e32 v169, v217, v169
	s_delay_alu instid0(VALU_DEP_2) | instskip(SKIP_2) | instid1(VALU_DEP_3)
	v_fmamk_f32 v211, v184, 0x3f3d2fb0, v210
	v_fma_f32 v206, 0x3f3d2fb0, v184, -v210
	v_mul_f32_e32 v210, 0x3f763a35, v190
	v_dual_add_f32 v202, v211, v202 :: v_dual_mul_f32 v211, 0x3f3d2fb0, v187
	s_delay_alu instid0(VALU_DEP_1) | instskip(SKIP_1) | instid1(VALU_DEP_2)
	v_dual_add_f32 v204, v206, v204 :: v_dual_fmamk_f32 v213, v185, 0xbf2c7751, v211
	v_fmac_f32_e32 v211, 0x3f2c7751, v185
	v_add_f32_e32 v203, v213, v203
	v_mul_f32_e32 v213, 0xbeb8f4ab, v243
	s_delay_alu instid0(VALU_DEP_1) | instskip(SKIP_1) | instid1(VALU_DEP_2)
	v_fmamk_f32 v217, v240, 0x3f6eb680, v213
	v_fma_f32 v206, 0x3f6eb680, v240, -v213
	v_add_f32_e32 v202, v217, v202
	s_delay_alu instid0(VALU_DEP_2) | instskip(SKIP_1) | instid1(VALU_DEP_2)
	v_dual_mul_f32 v217, 0x3f6eb680, v246 :: v_dual_add_f32 v204, v206, v204
	v_fmac_f32_e32 v207, 0x3e3c28d5, v177
	v_dual_fmamk_f32 v218, v244, 0x3eb8f4ab, v217 :: v_dual_add_f32 v169, v219, v169
	s_delay_alu instid0(VALU_DEP_2) | instskip(NEXT) | instid1(VALU_DEP_2)
	v_add_f32_e32 v205, v207, v205
	v_dual_add_f32 v203, v218, v203 :: v_dual_mul_f32 v218, 0xbf7ee86f, v245
	s_delay_alu instid0(VALU_DEP_1) | instskip(SKIP_1) | instid1(VALU_DEP_2)
	v_fmamk_f32 v219, v197, 0x3dbcf732, v218
	v_fma_f32 v206, 0x3dbcf732, v197, -v218
	v_dual_add_f32 v202, v219, v202 :: v_dual_mul_f32 v219, 0x3dbcf732, v199
	s_delay_alu instid0(VALU_DEP_2) | instskip(NEXT) | instid1(VALU_DEP_2)
	v_add_f32_e32 v204, v206, v204
	v_fmamk_f32 v220, v196, 0x3f7ee86f, v219
	v_fmac_f32_e32 v219, 0xbf7ee86f, v196
	s_delay_alu instid0(VALU_DEP_2) | instskip(NEXT) | instid1(VALU_DEP_1)
	v_dual_add_f32 v203, v220, v203 :: v_dual_mul_f32 v220, 0xbf06c442, v181
	v_fma_f32 v206, 0xbf59a7d5, v171, -v220
	s_delay_alu instid0(VALU_DEP_1) | instskip(SKIP_3) | instid1(VALU_DEP_4)
	v_dual_add_f32 v204, v206, v204 :: v_dual_fmac_f32 v209, 0x3f763a35, v193
	v_fmamk_f32 v206, v186, 0xbf7ba420, v208
	v_fma_f32 v208, 0xbf7ba420, v186, -v208
	v_fmamk_f32 v221, v171, 0xbf59a7d5, v220
	v_add_f32_e32 v205, v209, v205
	s_delay_alu instid0(VALU_DEP_4) | instskip(NEXT) | instid1(VALU_DEP_4)
	v_add_f32_e32 v206, v206, v225
	v_dual_mul_f32 v209, 0xbf7ba420, v189 :: v_dual_add_f32 v208, v208, v226
	s_delay_alu instid0(VALU_DEP_3) | instskip(SKIP_1) | instid1(VALU_DEP_3)
	v_dual_add_f32 v202, v221, v202 :: v_dual_add_f32 v205, v211, v205
	v_fmamk_f32 v211, v176, 0xbe8c1d8e, v210
	v_fmamk_f32 v207, v188, 0x3e3c28d5, v209
	v_fma_f32 v210, 0xbe8c1d8e, v176, -v210
	s_delay_alu instid0(VALU_DEP_3) | instskip(NEXT) | instid1(VALU_DEP_2)
	v_dual_add_f32 v206, v211, v206 :: v_dual_mul_f32 v211, 0xbe8c1d8e, v179
	v_dual_add_f32 v207, v207, v215 :: v_dual_add_f32 v208, v210, v208
	v_fmac_f32_e32 v217, 0xbeb8f4ab, v244
	s_delay_alu instid0(VALU_DEP_3) | instskip(SKIP_1) | instid1(VALU_DEP_3)
	v_fmamk_f32 v212, v177, 0xbf763a35, v211
	v_fmac_f32_e32 v211, 0x3f763a35, v177
	v_add_f32_e32 v205, v217, v205
	s_delay_alu instid0(VALU_DEP_3) | instskip(SKIP_1) | instid1(VALU_DEP_1)
	v_add_f32_e32 v207, v212, v207
	v_mul_f32_e32 v212, 0x3eb8f4ab, v247
	v_fmamk_f32 v213, v192, 0x3f6eb680, v212
	v_fma_f32 v210, 0x3f6eb680, v192, -v212
	v_mul_f32_e32 v221, 0xbf59a7d5, v182
	v_mul_f32_e32 v212, 0x3f06c442, v195
	s_delay_alu instid0(VALU_DEP_4) | instskip(NEXT) | instid1(VALU_DEP_4)
	v_add_f32_e32 v206, v213, v206
	v_dual_mul_f32 v213, 0x3f6eb680, v198 :: v_dual_add_f32 v208, v210, v208
	s_delay_alu instid0(VALU_DEP_4) | instskip(NEXT) | instid1(VALU_DEP_2)
	v_fmamk_f32 v222, v170, 0x3f06c442, v221
	v_fmamk_f32 v215, v193, 0xbeb8f4ab, v213
	s_delay_alu instid0(VALU_DEP_1) | instskip(SKIP_1) | instid1(VALU_DEP_1)
	v_add_f32_e32 v207, v215, v207
	v_mul_f32_e32 v215, 0xbf65296c, v194
	v_fmamk_f32 v217, v184, 0x3ee437d1, v215
	v_fma_f32 v210, 0x3ee437d1, v184, -v215
	s_delay_alu instid0(VALU_DEP_2) | instskip(SKIP_1) | instid1(VALU_DEP_3)
	v_dual_add_f32 v206, v217, v206 :: v_dual_mul_f32 v217, 0x3ee437d1, v187
	v_add_f32_e32 v203, v222, v203
	v_add_f32_e32 v208, v210, v208
	s_delay_alu instid0(VALU_DEP_3) | instskip(NEXT) | instid1(VALU_DEP_1)
	v_fmamk_f32 v218, v185, 0x3f65296c, v217
	v_add_f32_e32 v207, v218, v207
	v_dual_mul_f32 v218, 0xbf06c442, v243 :: v_dual_add_f32 v205, v219, v205
	s_delay_alu instid0(VALU_DEP_1) | instskip(SKIP_1) | instid1(VALU_DEP_2)
	v_fmamk_f32 v219, v240, 0xbf59a7d5, v218
	v_fma_f32 v210, 0xbf59a7d5, v240, -v218
	v_add_f32_e32 v206, v219, v206
	s_delay_alu instid0(VALU_DEP_2) | instskip(NEXT) | instid1(VALU_DEP_1)
	v_dual_mul_f32 v219, 0xbf59a7d5, v246 :: v_dual_add_f32 v208, v210, v208
	v_fmamk_f32 v220, v244, 0x3f06c442, v219
	s_delay_alu instid0(VALU_DEP_1) | instskip(NEXT) | instid1(VALU_DEP_1)
	v_dual_add_f32 v207, v220, v207 :: v_dual_mul_f32 v220, 0x3f4c4adb, v245
	v_fma_f32 v210, 0xbf1a4643, v197, -v220
	s_delay_alu instid0(VALU_DEP_1) | instskip(NEXT) | instid1(VALU_DEP_1)
	v_dual_fmac_f32 v221, 0xbf06c442, v170 :: v_dual_add_f32 v208, v210, v208
	v_add_f32_e32 v205, v221, v205
	v_fmamk_f32 v221, v197, 0xbf1a4643, v220
	s_delay_alu instid0(VALU_DEP_1) | instskip(NEXT) | instid1(VALU_DEP_1)
	v_dual_add_f32 v206, v221, v206 :: v_dual_mul_f32 v221, 0xbf1a4643, v199
	v_fmamk_f32 v222, v196, 0xbf4c4adb, v221
	v_fmac_f32_e32 v221, 0x3f4c4adb, v196
	s_delay_alu instid0(VALU_DEP_2) | instskip(NEXT) | instid1(VALU_DEP_1)
	v_dual_add_f32 v207, v222, v207 :: v_dual_mul_f32 v222, 0x3f2c7751, v181
	v_fma_f32 v210, 0x3f3d2fb0, v171, -v222
	s_delay_alu instid0(VALU_DEP_1) | instskip(SKIP_3) | instid1(VALU_DEP_4)
	v_dual_fmamk_f32 v223, v171, 0x3f3d2fb0, v222 :: v_dual_add_f32 v208, v210, v208
	v_fmac_f32_e32 v209, 0xbe3c28d5, v188
	v_fmamk_f32 v210, v186, 0xbf59a7d5, v212
	v_fma_f32 v212, 0xbf59a7d5, v186, -v212
	v_add_f32_e32 v206, v223, v206
	v_mul_f32_e32 v223, 0x3f3d2fb0, v182
	v_add_f32_e32 v209, v209, v214
	v_mul_f32_e32 v214, 0x3f2c7751, v190
	v_add_f32_e32 v212, v212, v254
	v_dual_add_f32 v210, v210, v227 :: v_dual_fmac_f32 v217, 0xbf65296c, v185
	s_delay_alu instid0(VALU_DEP_4) | instskip(NEXT) | instid1(VALU_DEP_4)
	v_add_f32_e32 v209, v211, v209
	v_fmamk_f32 v215, v176, 0x3f3d2fb0, v214
	v_fma_f32 v214, 0x3f3d2fb0, v176, -v214
	v_fmamk_f32 v224, v170, 0xbf2c7751, v223
	v_fmac_f32_e32 v219, 0xbf06c442, v244
	v_fmac_f32_e32 v223, 0x3f2c7751, v170
	v_add_f32_e32 v210, v215, v210
	v_dual_add_f32 v212, v214, v212 :: v_dual_fmac_f32 v213, 0x3eb8f4ab, v193
	v_mul_f32_e32 v215, 0x3f3d2fb0, v179
	s_delay_alu instid0(VALU_DEP_2) | instskip(SKIP_1) | instid1(VALU_DEP_2)
	v_add_f32_e32 v209, v213, v209
	v_mul_f32_e32 v213, 0xbf59a7d5, v189
	v_add_f32_e32 v209, v217, v209
	s_delay_alu instid0(VALU_DEP_2) | instskip(SKIP_1) | instid1(VALU_DEP_3)
	v_fmamk_f32 v211, v188, 0xbf06c442, v213
	v_fmac_f32_e32 v213, 0x3f06c442, v188
	v_add_f32_e32 v209, v219, v209
	s_delay_alu instid0(VALU_DEP_3) | instskip(NEXT) | instid1(VALU_DEP_3)
	v_dual_add_f32 v211, v211, v216 :: v_dual_fmamk_f32 v216, v177, 0xbf2c7751, v215
	v_add_f32_e32 v213, v213, v253
	v_fmac_f32_e32 v215, 0x3f2c7751, v177
	s_delay_alu instid0(VALU_DEP_4) | instskip(NEXT) | instid1(VALU_DEP_4)
	v_add_f32_e32 v209, v221, v209
	v_add_f32_e32 v211, v216, v211
	s_delay_alu instid0(VALU_DEP_3) | instskip(NEXT) | instid1(VALU_DEP_3)
	v_dual_mul_f32 v216, 0xbf65296c, v247 :: v_dual_add_f32 v213, v215, v213
	v_add_f32_e32 v209, v223, v209
	v_mul_f32_e32 v215, 0xbe8c1d8e, v189
	s_delay_alu instid0(VALU_DEP_3) | instskip(SKIP_2) | instid1(VALU_DEP_3)
	v_fmamk_f32 v217, v192, 0x3ee437d1, v216
	v_fma_f32 v214, 0x3ee437d1, v192, -v216
	v_mul_f32_e32 v216, 0xbeb8f4ab, v190
	v_add_f32_e32 v210, v217, v210
	s_delay_alu instid0(VALU_DEP_3) | instskip(NEXT) | instid1(VALU_DEP_1)
	v_dual_mul_f32 v217, 0x3ee437d1, v198 :: v_dual_add_f32 v212, v214, v212
	v_dual_fmamk_f32 v218, v193, 0x3f65296c, v217 :: v_dual_add_f32 v207, v224, v207
	v_fmac_f32_e32 v217, 0xbf65296c, v193
	s_delay_alu instid0(VALU_DEP_2) | instskip(NEXT) | instid1(VALU_DEP_2)
	v_dual_add_f32 v211, v218, v211 :: v_dual_mul_f32 v218, 0xbe3c28d5, v194
	v_add_f32_e32 v213, v217, v213
	v_fmamk_f32 v217, v176, 0x3f6eb680, v216
	v_fma_f32 v216, 0x3f6eb680, v176, -v216
	s_delay_alu instid0(VALU_DEP_4) | instskip(SKIP_1) | instid1(VALU_DEP_2)
	v_fmamk_f32 v219, v184, 0xbf7ba420, v218
	v_fma_f32 v214, 0xbf7ba420, v184, -v218
	v_dual_add_f32 v210, v219, v210 :: v_dual_mul_f32 v219, 0xbf7ba420, v187
	s_delay_alu instid0(VALU_DEP_2) | instskip(NEXT) | instid1(VALU_DEP_2)
	v_add_f32_e32 v212, v214, v212
	v_fmamk_f32 v220, v185, 0x3e3c28d5, v219
	v_fmac_f32_e32 v219, 0xbe3c28d5, v185
	s_delay_alu instid0(VALU_DEP_2) | instskip(NEXT) | instid1(VALU_DEP_2)
	v_add_f32_e32 v211, v220, v211
	v_dual_mul_f32 v220, 0x3f7ee86f, v243 :: v_dual_add_f32 v213, v219, v213
	s_delay_alu instid0(VALU_DEP_1) | instskip(SKIP_1) | instid1(VALU_DEP_2)
	v_fmamk_f32 v221, v240, 0x3dbcf732, v220
	v_fma_f32 v214, 0x3dbcf732, v240, -v220
	v_add_f32_e32 v210, v221, v210
	s_delay_alu instid0(VALU_DEP_2) | instskip(NEXT) | instid1(VALU_DEP_1)
	v_dual_mul_f32 v221, 0x3dbcf732, v246 :: v_dual_add_f32 v212, v214, v212
	v_fmamk_f32 v222, v244, 0xbf7ee86f, v221
	v_fmac_f32_e32 v221, 0x3f7ee86f, v244
	s_delay_alu instid0(VALU_DEP_2) | instskip(NEXT) | instid1(VALU_DEP_2)
	v_dual_add_f32 v211, v222, v211 :: v_dual_mul_f32 v222, 0xbeb8f4ab, v245
	v_add_f32_e32 v213, v221, v213
	s_delay_alu instid0(VALU_DEP_2) | instskip(SKIP_1) | instid1(VALU_DEP_2)
	v_fmamk_f32 v223, v197, 0x3f6eb680, v222
	v_fma_f32 v214, 0x3f6eb680, v197, -v222
	v_dual_add_f32 v210, v223, v210 :: v_dual_mul_f32 v223, 0x3f6eb680, v199
	s_delay_alu instid0(VALU_DEP_2) | instskip(NEXT) | instid1(VALU_DEP_2)
	v_add_f32_e32 v212, v214, v212
	v_fmamk_f32 v224, v196, 0x3eb8f4ab, v223
	v_fmac_f32_e32 v223, 0xbeb8f4ab, v196
	s_delay_alu instid0(VALU_DEP_2) | instskip(NEXT) | instid1(VALU_DEP_2)
	v_dual_add_f32 v211, v224, v211 :: v_dual_mul_f32 v224, 0xbf4c4adb, v181
	v_add_f32_e32 v213, v223, v213
	s_delay_alu instid0(VALU_DEP_2) | instskip(SKIP_1) | instid1(VALU_DEP_2)
	v_fma_f32 v214, 0xbf1a4643, v171, -v224
	v_fmamk_f32 v225, v171, 0xbf1a4643, v224
	v_dual_add_f32 v253, v214, v212 :: v_dual_mul_f32 v214, 0x3f763a35, v195
	s_delay_alu instid0(VALU_DEP_2) | instskip(SKIP_1) | instid1(VALU_DEP_3)
	v_add_f32_e32 v210, v225, v210
	v_mul_f32_e32 v225, 0xbf1a4643, v182
	v_fmamk_f32 v212, v186, 0xbe8c1d8e, v214
	v_fma_f32 v214, 0xbe8c1d8e, v186, -v214
	s_delay_alu instid0(VALU_DEP_3) | instskip(NEXT) | instid1(VALU_DEP_3)
	v_fmamk_f32 v226, v170, 0x3f4c4adb, v225
	v_dual_fmac_f32 v225, 0xbf4c4adb, v170 :: v_dual_add_f32 v212, v212, v252
	s_delay_alu instid0(VALU_DEP_3) | instskip(NEXT) | instid1(VALU_DEP_2)
	v_add_f32_e32 v214, v214, v249
	v_dual_add_f32 v254, v225, v213 :: v_dual_fmamk_f32 v213, v188, 0xbf763a35, v215
	s_delay_alu instid0(VALU_DEP_3) | instskip(NEXT) | instid1(VALU_DEP_3)
	v_dual_add_f32 v212, v217, v212 :: v_dual_mul_f32 v217, 0x3f6eb680, v179
	v_dual_add_f32 v214, v216, v214 :: v_dual_fmac_f32 v215, 0x3f763a35, v188
	s_delay_alu instid0(VALU_DEP_3) | instskip(NEXT) | instid1(VALU_DEP_3)
	v_add_f32_e32 v213, v213, v250
	v_fmamk_f32 v218, v177, 0x3eb8f4ab, v217
	v_fmac_f32_e32 v217, 0xbeb8f4ab, v177
	s_delay_alu instid0(VALU_DEP_4) | instskip(NEXT) | instid1(VALU_DEP_3)
	v_add_f32_e32 v215, v215, v248
	v_dual_add_f32 v213, v218, v213 :: v_dual_mul_f32 v218, 0xbf06c442, v247
	s_delay_alu instid0(VALU_DEP_1) | instskip(SKIP_3) | instid1(VALU_DEP_4)
	v_fmamk_f32 v219, v192, 0xbf59a7d5, v218
	v_fma_f32 v216, 0xbf59a7d5, v192, -v218
	v_mul_f32_e32 v218, 0xbf7ee86f, v190
	v_mul_f32_e32 v190, 0xbf06c442, v190
	v_dual_add_f32 v212, v219, v212 :: v_dual_mul_f32 v219, 0xbf59a7d5, v198
	s_delay_alu instid0(VALU_DEP_4) | instskip(NEXT) | instid1(VALU_DEP_2)
	v_add_f32_e32 v214, v216, v214
	v_fmamk_f32 v220, v193, 0x3f06c442, v219
	v_fmac_f32_e32 v219, 0xbf06c442, v193
	s_delay_alu instid0(VALU_DEP_2) | instskip(NEXT) | instid1(VALU_DEP_1)
	v_dual_add_f32 v213, v220, v213 :: v_dual_mul_f32 v220, 0x3f7ee86f, v194
	v_fmamk_f32 v221, v184, 0x3dbcf732, v220
	v_fma_f32 v216, 0x3dbcf732, v184, -v220
	v_mul_f32_e32 v220, 0x3f4c4adb, v247
	s_delay_alu instid0(VALU_DEP_3) | instskip(NEXT) | instid1(VALU_DEP_3)
	v_dual_add_f32 v212, v221, v212 :: v_dual_mul_f32 v221, 0x3dbcf732, v187
	v_add_f32_e32 v214, v216, v214
	s_delay_alu instid0(VALU_DEP_2) | instskip(SKIP_1) | instid1(VALU_DEP_2)
	v_fmamk_f32 v222, v185, 0xbf7ee86f, v221
	v_fmac_f32_e32 v221, 0x3f7ee86f, v185
	v_dual_add_f32 v213, v222, v213 :: v_dual_mul_f32 v222, 0xbf2c7751, v243
	s_delay_alu instid0(VALU_DEP_1) | instskip(SKIP_2) | instid1(VALU_DEP_3)
	v_fmamk_f32 v223, v240, 0x3f3d2fb0, v222
	v_fma_f32 v216, 0x3f3d2fb0, v240, -v222
	v_mul_f32_e32 v222, 0xbeb8f4ab, v194
	v_dual_add_f32 v212, v223, v212 :: v_dual_mul_f32 v223, 0x3f3d2fb0, v246
	s_delay_alu instid0(VALU_DEP_3) | instskip(NEXT) | instid1(VALU_DEP_2)
	v_dual_add_f32 v211, v226, v211 :: v_dual_add_f32 v214, v216, v214
	v_fmamk_f32 v224, v244, 0x3f2c7751, v223
	s_delay_alu instid0(VALU_DEP_1) | instskip(SKIP_1) | instid1(VALU_DEP_1)
	v_add_f32_e32 v213, v224, v213
	v_mul_f32_e32 v224, 0xbe3c28d5, v245
	v_fmamk_f32 v225, v197, 0xbf7ba420, v224
	v_fma_f32 v216, 0xbf7ba420, v197, -v224
	v_mul_f32_e32 v224, 0xbe3c28d5, v243
	s_delay_alu instid0(VALU_DEP_3) | instskip(NEXT) | instid1(VALU_DEP_3)
	v_dual_add_f32 v212, v225, v212 :: v_dual_mul_f32 v225, 0xbf7ba420, v199
	v_add_f32_e32 v214, v216, v214
	s_delay_alu instid0(VALU_DEP_2) | instskip(NEXT) | instid1(VALU_DEP_1)
	v_fmamk_f32 v226, v196, 0x3e3c28d5, v225
	v_add_f32_e32 v213, v226, v213
	v_mul_f32_e32 v226, 0x3f65296c, v181
	s_delay_alu instid0(VALU_DEP_1) | instskip(SKIP_2) | instid1(VALU_DEP_3)
	v_fma_f32 v216, 0x3ee437d1, v171, -v226
	v_fmamk_f32 v227, v171, 0x3ee437d1, v226
	v_dual_mul_f32 v226, 0x3f2c7751, v245 :: v_dual_add_f32 v215, v217, v215
	v_dual_mul_f32 v217, 0x3ee437d1, v189 :: v_dual_add_f32 v248, v216, v214
	v_mul_f32_e32 v216, 0x3f65296c, v195
	s_delay_alu instid0(VALU_DEP_4) | instskip(NEXT) | instid1(VALU_DEP_4)
	v_add_f32_e32 v212, v227, v212
	v_add_f32_e32 v215, v219, v215
	v_mul_f32_e32 v219, 0x3dbcf732, v179
	s_delay_alu instid0(VALU_DEP_4) | instskip(SKIP_1) | instid1(VALU_DEP_4)
	v_dual_mul_f32 v227, 0x3ee437d1, v182 :: v_dual_fmamk_f32 v214, v186, 0x3ee437d1, v216
	v_mul_f32_e32 v189, 0x3f6eb680, v189
	v_add_f32_e32 v215, v221, v215
	v_mul_f32_e32 v221, 0xbf1a4643, v198
	s_delay_alu instid0(VALU_DEP_4)
	v_dual_mul_f32 v198, 0x3f3d2fb0, v198 :: v_dual_add_f32 v191, v214, v191
	v_fmamk_f32 v214, v188, 0xbf65296c, v217
	v_fmac_f32_e32 v223, 0xbf2c7751, v244
	v_fmamk_f32 v228, v170, 0xbf65296c, v227
	v_fmac_f32_e32 v227, 0x3f65296c, v170
	v_mul_f32_e32 v179, 0xbf59a7d5, v179
	v_dual_add_f32 v183, v214, v183 :: v_dual_fmamk_f32 v214, v176, 0x3dbcf732, v218
	v_add_f32_e32 v215, v223, v215
	v_mul_f32_e32 v223, 0x3f6eb680, v187
	s_delay_alu instid0(VALU_DEP_3) | instskip(NEXT) | instid1(VALU_DEP_1)
	v_dual_add_f32 v191, v214, v191 :: v_dual_fmamk_f32 v214, v177, 0x3f7ee86f, v219
	v_dual_add_f32 v183, v214, v183 :: v_dual_fmamk_f32 v214, v192, 0xbf1a4643, v220
	s_delay_alu instid0(VALU_DEP_1) | instskip(NEXT) | instid1(VALU_DEP_1)
	v_dual_add_f32 v191, v214, v191 :: v_dual_fmamk_f32 v214, v193, 0xbf4c4adb, v221
	v_dual_add_f32 v183, v214, v183 :: v_dual_fmamk_f32 v214, v184, 0x3f6eb680, v222
	s_delay_alu instid0(VALU_DEP_1) | instskip(SKIP_1) | instid1(VALU_DEP_2)
	v_dual_add_f32 v191, v214, v191 :: v_dual_fmamk_f32 v214, v185, 0x3eb8f4ab, v223
	v_fmac_f32_e32 v223, 0xbeb8f4ab, v185
	v_dual_add_f32 v183, v214, v183 :: v_dual_fmamk_f32 v214, v240, 0xbf7ba420, v224
	v_fmac_f32_e32 v225, 0xbe3c28d5, v196
	s_delay_alu instid0(VALU_DEP_2) | instskip(NEXT) | instid1(VALU_DEP_2)
	v_add_f32_e32 v191, v214, v191
	v_add_f32_e32 v215, v225, v215
	v_mul_f32_e32 v225, 0xbf7ba420, v246
	s_delay_alu instid0(VALU_DEP_1)
	v_dual_add_f32 v249, v227, v215 :: v_dual_fmamk_f32 v214, v244, 0x3e3c28d5, v225
	v_mul_f32_e32 v227, 0x3f3d2fb0, v199
	v_add_f32_e32 v213, v228, v213
	v_mul_f32_e32 v228, 0xbf763a35, v181
	v_mul_f32_e32 v181, 0x3f7ee86f, v181
	v_dual_add_f32 v183, v214, v183 :: v_dual_fmamk_f32 v214, v197, 0x3f3d2fb0, v226
	v_fmac_f32_e32 v225, 0xbe3c28d5, v244
	s_delay_alu instid0(VALU_DEP_2) | instskip(SKIP_1) | instid1(VALU_DEP_2)
	v_dual_add_f32 v191, v214, v191 :: v_dual_fmamk_f32 v214, v196, 0xbf2c7751, v227
	v_fmac_f32_e32 v227, 0x3f2c7751, v196
	v_dual_add_f32 v183, v214, v183 :: v_dual_fmamk_f32 v214, v171, 0xbe8c1d8e, v228
	s_delay_alu instid0(VALU_DEP_1) | instskip(SKIP_1) | instid1(VALU_DEP_2)
	v_dual_add_f32 v214, v214, v191 :: v_dual_mul_f32 v191, 0xbe8c1d8e, v182
	v_mul_f32_e32 v182, 0x3dbcf732, v182
	v_fmamk_f32 v215, v170, 0x3f763a35, v191
	v_fmac_f32_e32 v191, 0xbf763a35, v170
	s_delay_alu instid0(VALU_DEP_2) | instskip(SKIP_1) | instid1(VALU_DEP_1)
	v_add_f32_e32 v215, v215, v183
	v_fma_f32 v183, 0x3ee437d1, v186, -v216
	v_add_f32_e32 v180, v183, v180
	v_fma_f32 v183, 0x3dbcf732, v176, -v218
	s_delay_alu instid0(VALU_DEP_1) | instskip(SKIP_1) | instid1(VALU_DEP_1)
	v_add_f32_e32 v180, v183, v180
	v_fma_f32 v183, 0xbf1a4643, v192, -v220
	v_add_f32_e32 v180, v183, v180
	v_fma_f32 v183, 0x3f6eb680, v184, -v222
	s_delay_alu instid0(VALU_DEP_1) | instskip(SKIP_1) | instid1(VALU_DEP_1)
	v_add_f32_e32 v180, v183, v180
	v_fma_f32 v183, 0xbf7ba420, v240, -v224
	v_add_f32_e32 v180, v183, v180
	v_fma_f32 v183, 0x3f3d2fb0, v197, -v226
	s_delay_alu instid0(VALU_DEP_1) | instskip(NEXT) | instid1(VALU_DEP_1)
	v_dual_add_f32 v180, v183, v180 :: v_dual_mul_f32 v183, 0x3eb8f4ab, v195
	v_fmamk_f32 v195, v186, 0x3f6eb680, v183
	v_fma_f32 v183, 0x3f6eb680, v186, -v183
	s_delay_alu instid0(VALU_DEP_2) | instskip(SKIP_2) | instid1(VALU_DEP_4)
	v_dual_mul_f32 v186, 0xbf4c4adb, v194 :: v_dual_add_f32 v175, v195, v175
	v_fmamk_f32 v195, v188, 0xbeb8f4ab, v189
	v_fmac_f32_e32 v189, 0x3eb8f4ab, v188
	v_add_f32_e32 v172, v183, v172
	s_delay_alu instid0(VALU_DEP_3) | instskip(SKIP_1) | instid1(VALU_DEP_4)
	v_dual_add_f32 v174, v195, v174 :: v_dual_fmamk_f32 v195, v176, 0xbf59a7d5, v190
	v_fma_f32 v176, 0xbf59a7d5, v176, -v190
	v_add_f32_e32 v173, v189, v173
	s_delay_alu instid0(VALU_DEP_3) | instskip(SKIP_1) | instid1(VALU_DEP_4)
	v_add_f32_e32 v175, v195, v175
	v_fmamk_f32 v195, v177, 0x3f06c442, v179
	v_dual_fmac_f32 v179, 0xbf06c442, v177 :: v_dual_add_f32 v172, v176, v172
	s_delay_alu instid0(VALU_DEP_2) | instskip(NEXT) | instid1(VALU_DEP_2)
	v_dual_add_f32 v174, v195, v174 :: v_dual_mul_f32 v195, 0x3f2c7751, v247
	v_add_f32_e32 v173, v179, v173
	v_mul_f32_e32 v179, 0x3f65296c, v243
	s_delay_alu instid0(VALU_DEP_3) | instskip(SKIP_1) | instid1(VALU_DEP_2)
	v_fma_f32 v176, 0x3f3d2fb0, v192, -v195
	v_fmamk_f32 v216, v192, 0x3f3d2fb0, v195
	v_add_f32_e32 v172, v176, v172
	v_fma_f32 v176, 0xbf1a4643, v184, -v186
	s_delay_alu instid0(VALU_DEP_3) | instskip(SKIP_1) | instid1(VALU_DEP_3)
	v_dual_add_f32 v175, v216, v175 :: v_dual_fmamk_f32 v216, v193, 0xbf2c7751, v198
	v_fmac_f32_e32 v198, 0x3f2c7751, v193
	v_add_f32_e32 v172, v176, v172
	v_fma_f32 v176, 0x3ee437d1, v240, -v179
	s_delay_alu instid0(VALU_DEP_3) | instskip(NEXT) | instid1(VALU_DEP_2)
	v_dual_add_f32 v174, v216, v174 :: v_dual_add_f32 v173, v198, v173
	v_add_f32_e32 v176, v176, v172
	v_fma_f32 v172, 0xbe8c1d8e, v171, -v228
	v_fmac_f32_e32 v217, 0x3f65296c, v188
	v_fmamk_f32 v188, v184, 0xbf1a4643, v186
	s_delay_alu instid0(VALU_DEP_3)
	v_add_f32_e32 v172, v172, v180
	v_fmamk_f32 v180, v171, 0x3dbcf732, v181
	v_fmac_f32_e32 v219, 0xbf7ee86f, v177
	v_mul_f32_e32 v177, 0xbf1a4643, v187
	v_dual_add_f32 v175, v188, v175 :: v_dual_add_f32 v178, v217, v178
	v_fma_f32 v181, 0x3dbcf732, v171, -v181
	s_delay_alu instid0(VALU_DEP_3) | instskip(NEXT) | instid1(VALU_DEP_3)
	v_fmamk_f32 v183, v185, 0x3f4c4adb, v177
	v_dual_fmac_f32 v177, 0xbf4c4adb, v185 :: v_dual_add_f32 v178, v219, v178
	s_delay_alu instid0(VALU_DEP_2) | instskip(NEXT) | instid1(VALU_DEP_2)
	v_dual_add_f32 v174, v183, v174 :: v_dual_fmamk_f32 v183, v240, 0x3ee437d1, v179
	v_add_f32_e32 v173, v177, v173
	v_mul_f32_e32 v177, 0xbf763a35, v245
	s_delay_alu instid0(VALU_DEP_3) | instskip(SKIP_1) | instid1(VALU_DEP_3)
	v_add_f32_e32 v175, v183, v175
	v_mul_f32_e32 v183, 0x3ee437d1, v246
	v_fmamk_f32 v179, v197, 0xbe8c1d8e, v177
	v_fma_f32 v177, 0xbe8c1d8e, v197, -v177
	s_delay_alu instid0(VALU_DEP_2) | instskip(NEXT) | instid1(VALU_DEP_2)
	v_dual_fmamk_f32 v184, v244, 0xbf65296c, v183 :: v_dual_add_f32 v175, v179, v175
	v_dual_add_f32 v176, v177, v176 :: v_dual_fmamk_f32 v177, v170, 0xbf7ee86f, v182
	v_fmac_f32_e32 v182, 0x3f7ee86f, v170
	s_delay_alu instid0(VALU_DEP_3) | instskip(SKIP_2) | instid1(VALU_DEP_2)
	v_dual_fmac_f32 v183, 0x3f65296c, v244 :: v_dual_add_f32 v170, v180, v175
	v_fmac_f32_e32 v221, 0x3f4c4adb, v193
	v_dual_mul_f32 v179, 0xbe8c1d8e, v199 :: v_dual_add_f32 v174, v184, v174
	v_dual_add_f32 v173, v183, v173 :: v_dual_add_f32 v178, v221, v178
	s_delay_alu instid0(VALU_DEP_2) | instskip(NEXT) | instid1(VALU_DEP_2)
	v_fmamk_f32 v183, v196, 0x3f763a35, v179
	v_dual_fmac_f32 v179, 0xbf763a35, v196 :: v_dual_add_f32 v178, v223, v178
	s_delay_alu instid0(VALU_DEP_2) | instskip(NEXT) | instid1(VALU_DEP_2)
	v_add_f32_e32 v174, v183, v174
	v_dual_add_f32 v179, v179, v173 :: v_dual_add_f32 v178, v225, v178
	s_delay_alu instid0(VALU_DEP_2) | instskip(NEXT) | instid1(VALU_DEP_2)
	v_add_f32_e32 v171, v177, v174
	v_dual_add_f32 v174, v181, v176 :: v_dual_add_f32 v175, v182, v179
	s_delay_alu instid0(VALU_DEP_3) | instskip(NEXT) | instid1(VALU_DEP_1)
	v_add_f32_e32 v178, v227, v178
	v_add_f32_e32 v173, v191, v178
	ds_store_2addr_b64 v251, v[128:129], v[156:157] offset1:1
	ds_store_2addr_b64 v251, v[158:159], v[202:203] offset0:2 offset1:3
	ds_store_2addr_b64 v251, v[206:207], v[210:211] offset0:4 offset1:5
	;; [unrolled: 1-line block ×7, first 2 shown]
	ds_store_b64 v251, v[138:139] offset:128
	s_and_saveexec_b32 s0, vcc_lo
	s_cbranch_execz .LBB0_13
; %bb.12:
	v_dual_add_f32 v128, v141, v131 :: v_dual_add_f32 v129, v140, v130
	v_dual_sub_f32 v138, v146, v164 :: v_dual_add_f32 v159, v165, v147
	v_dual_add_f32 v139, v164, v146 :: v_dual_add_f32 v168, v163, v161
	s_delay_alu instid0(VALU_DEP_3) | instskip(SKIP_2) | instid1(VALU_DEP_4)
	v_dual_add_f32 v128, v143, v128 :: v_dual_add_f32 v129, v142, v129
	v_sub_f32_e32 v156, v152, v166
	v_sub_f32_e32 v158, v161, v163
	v_mul_f32_e32 v252, 0x3dbcf732, v168
	s_delay_alu instid0(VALU_DEP_4) | instskip(NEXT) | instid1(VALU_DEP_3)
	v_dual_add_f32 v128, v145, v128 :: v_dual_add_f32 v129, v144, v129
	v_dual_mov_b32 v12, v200 :: v_dual_mul_f32 v207, 0x3f2c7751, v158
	s_delay_alu instid0(VALU_DEP_2) | instskip(NEXT) | instid1(VALU_DEP_3)
	v_dual_mul_f32 v243, 0x3f4c4adb, v158 :: v_dual_add_f32 v128, v151, v128
	v_dual_add_f32 v129, v150, v129 :: v_dual_mov_b32 v14, v229
	v_mov_b32_e32 v16, v232
	v_mov_b32_e32 v20, v236
	s_delay_alu instid0(VALU_DEP_3) | instskip(SKIP_3) | instid1(VALU_DEP_4)
	v_dual_add_f32 v128, v153, v128 :: v_dual_add_f32 v129, v152, v129
	v_add_f32_e32 v152, v166, v152
	v_mov_b32_e32 v18, v234
	v_mul_f32_e32 v8, 0xbf06c442, v158
	v_dual_add_f32 v128, v147, v128 :: v_dual_add_f32 v129, v146, v129
	v_dual_sub_f32 v157, v147, v165 :: v_dual_sub_f32 v146, v160, v162
	v_add_f32_e32 v147, v162, v160
	s_delay_alu instid0(VALU_DEP_3) | instskip(SKIP_2) | instid1(VALU_DEP_3)
	v_dual_add_f32 v128, v161, v128 :: v_dual_add_f32 v129, v160, v129
	v_dual_add_f32 v161, v167, v153 :: v_dual_sub_f32 v160, v153, v167
	v_sub_f32_e32 v153, v150, v148
	v_dual_add_f32 v128, v135, v128 :: v_dual_add_f32 v129, v134, v129
	v_mul_f32_e32 v206, 0xbe3c28d5, v157
	s_delay_alu instid0(VALU_DEP_4) | instskip(SKIP_1) | instid1(VALU_DEP_4)
	v_mul_f32_e32 v205, 0xbeb8f4ab, v160
	v_mul_f32_e32 v210, 0xbf4c4adb, v156
	v_dual_add_f32 v128, v137, v128 :: v_dual_add_f32 v129, v136, v129
	v_mul_f32_e32 v226, 0x3ee437d1, v161
	v_mul_f32_e32 v240, 0xbf65296c, v160
	;; [unrolled: 1-line block ×3, first 2 shown]
	s_delay_alu instid0(VALU_DEP_4) | instskip(SKIP_2) | instid1(VALU_DEP_3)
	v_dual_add_f32 v128, v163, v128 :: v_dual_add_f32 v129, v162, v129
	v_dual_add_f32 v163, v155, v145 :: v_dual_mul_f32 v254, 0x3f2c7751, v160
	v_mul_f32_e32 v0, 0x3f06c442, v160
	v_dual_add_f32 v128, v165, v128 :: v_dual_add_f32 v129, v164, v129
	s_delay_alu instid0(VALU_DEP_3) | instskip(SKIP_2) | instid1(VALU_DEP_4)
	v_mul_f32_e32 v224, 0xbe8c1d8e, v163
	v_mul_f32_e32 v6, 0x3ee437d1, v163
	;; [unrolled: 1-line block ×3, first 2 shown]
	v_dual_add_f32 v128, v167, v128 :: v_dual_add_f32 v129, v166, v129
	v_dual_add_f32 v162, v149, v151 :: v_dual_sub_f32 v151, v151, v149
	s_delay_alu instid0(VALU_DEP_2) | instskip(NEXT) | instid1(VALU_DEP_3)
	v_dual_mul_f32 v249, 0x3f3d2fb0, v161 :: v_dual_add_f32 v128, v149, v128
	v_add_f32_e32 v129, v148, v129
	v_add_f32_e32 v150, v148, v150
	v_dual_sub_f32 v148, v144, v154 :: v_dual_sub_f32 v149, v145, v155
	v_sub_f32_e32 v145, v142, v132
	s_delay_alu instid0(VALU_DEP_4) | instskip(SKIP_3) | instid1(VALU_DEP_4)
	v_dual_add_f32 v128, v155, v128 :: v_dual_add_f32 v129, v154, v129
	v_add_f32_e32 v144, v154, v144
	v_dual_add_f32 v154, v133, v143 :: v_dual_sub_f32 v143, v143, v133
	v_add_f32_e32 v142, v132, v142
	v_add_f32_e32 v132, v132, v129
	v_dual_sub_f32 v129, v140, v237 :: v_dual_add_f32 v128, v133, v128
	v_add_f32_e32 v133, v238, v141
	v_sub_f32_e32 v141, v141, v238
	s_delay_alu instid0(VALU_DEP_3) | instskip(SKIP_1) | instid1(VALU_DEP_4)
	v_dual_add_f32 v140, v237, v140 :: v_dual_mul_f32 v155, 0xbe3c28d5, v129
	v_mul_f32_e32 v164, 0xbf06c442, v129
	v_mul_f32_e32 v167, 0xbf1a4643, v133
	s_delay_alu instid0(VALU_DEP_4)
	v_mul_f32_e32 v186, 0xbf2c7751, v141
	v_mul_f32_e32 v172, 0x3f3d2fb0, v133
	;; [unrolled: 1-line block ×5, first 2 shown]
	v_fmamk_f32 v191, v140, 0x3f3d2fb0, v186
	v_mul_f32_e32 v180, 0xbf06c442, v141
	v_mul_f32_e32 v170, 0x3dbcf732, v133
	;; [unrolled: 1-line block ×4, first 2 shown]
	v_add_f32_e32 v191, v130, v191
	v_fma_f32 v181, 0xbf59a7d5, v140, -v180
	v_fmamk_f32 v166, v133, 0xbf59a7d5, v164
	v_fma_f32 v164, 0xbf59a7d5, v133, -v164
	v_mul_f32_e32 v204, 0x3f4c4adb, v151
	v_mul_f32_e32 v247, 0xbf7ba420, v163
	v_add_f32_e32 v181, v130, v181
	v_dual_fmamk_f32 v165, v133, 0xbf7ba420, v155 :: v_dual_add_f32 v166, v131, v166
	v_fma_f32 v155, 0xbf7ba420, v133, -v155
	v_mul_f32_e32 v133, 0x3f6eb680, v133
	v_fmamk_f32 v173, v129, 0x3f4c4adb, v167
	s_delay_alu instid0(VALU_DEP_4) | instskip(SKIP_2) | instid1(VALU_DEP_4)
	v_add_f32_e32 v193, v131, v165
	v_dual_fmac_f32 v167, 0xbf4c4adb, v129 :: v_dual_add_f32 v196, v131, v164
	v_add_f32_e32 v194, v131, v155
	v_dual_fmamk_f32 v178, v129, 0x3eb8f4ab, v133 :: v_dual_add_f32 v173, v131, v173
	v_mul_f32_e32 v182, 0xbf4c4adb, v141
	s_delay_alu instid0(VALU_DEP_4) | instskip(NEXT) | instid1(VALU_DEP_3)
	v_dual_add_f32 v198, v131, v167 :: v_dual_mul_f32 v167, 0x3f65296c, v145
	v_dual_add_f32 v197, v131, v178 :: v_dual_mul_f32 v178, 0xbf7ee86f, v149
	s_delay_alu instid0(VALU_DEP_3)
	v_fmamk_f32 v187, v140, 0xbf1a4643, v182
	v_fma_f32 v182, 0xbf1a4643, v140, -v182
	v_mul_f32_e32 v227, 0xbe3c28d5, v143
	v_mul_f32_e32 v251, 0x3e3c28d5, v149
	;; [unrolled: 1-line block ×3, first 2 shown]
	v_add_f32_e32 v187, v130, v187
	v_add_f32_e32 v182, v130, v182
	v_fmamk_f32 v188, v140, 0xbe8c1d8e, v183
	v_fma_f32 v183, 0xbe8c1d8e, v140, -v183
	v_fmamk_f32 v174, v129, 0x3f763a35, v169
	v_mul_f32_e32 v246, 0xbf1a4643, v154
	v_mul_f32_e32 v228, 0x3f763a35, v149
	v_add_f32_e32 v188, v130, v188
	v_add_f32_e32 v183, v130, v183
	v_fmamk_f32 v189, v140, 0x3dbcf732, v184
	v_dual_fmamk_f32 v175, v129, 0x3f7ee86f, v170 :: v_dual_add_f32 v174, v131, v174
	v_fmac_f32_e32 v170, 0xbf7ee86f, v129
	s_delay_alu instid0(VALU_DEP_3) | instskip(SKIP_2) | instid1(VALU_DEP_4)
	v_dual_fmac_f32 v180, 0xbf59a7d5, v140 :: v_dual_add_f32 v189, v130, v189
	v_fmac_f32_e32 v169, 0xbf763a35, v129
	v_fma_f32 v184, 0x3dbcf732, v140, -v184
	v_add_f32_e32 v202, v131, v170
	s_delay_alu instid0(VALU_DEP_4)
	v_add_f32_e32 v180, v130, v180
	v_fmamk_f32 v190, v140, 0x3ee437d1, v185
	v_fmamk_f32 v176, v129, 0x3f65296c, v171
	v_fmac_f32_e32 v171, 0xbf65296c, v129
	v_fmamk_f32 v177, v129, 0x3f2c7751, v172
	v_dual_fmac_f32 v172, 0xbf2c7751, v129 :: v_dual_add_f32 v175, v131, v175
	v_dual_fmac_f32 v133, 0xbeb8f4ab, v129 :: v_dual_add_f32 v190, v130, v190
	v_mul_f32_e32 v129, 0xbe3c28d5, v141
	v_dual_mul_f32 v141, 0xbeb8f4ab, v141 :: v_dual_add_f32 v184, v130, v184
	v_fma_f32 v185, 0x3ee437d1, v140, -v185
	v_add_f32_e32 v203, v131, v171
	v_fma_f32 v186, 0x3f3d2fb0, v140, -v186
	s_delay_alu instid0(VALU_DEP_4) | instskip(NEXT) | instid1(VALU_DEP_4)
	v_dual_fmamk_f32 v192, v140, 0x3f6eb680, v141 :: v_dual_add_f32 v155, v131, v172
	v_add_f32_e32 v185, v130, v185
	v_add_f32_e32 v199, v131, v169
	s_delay_alu instid0(VALU_DEP_4) | instskip(NEXT) | instid1(VALU_DEP_4)
	v_add_f32_e32 v15, v130, v186
	v_add_f32_e32 v192, v130, v192
	v_fma_f32 v179, 0xbf7ba420, v140, -v129
	v_fmac_f32_e32 v129, 0xbf7ba420, v140
	v_fma_f32 v140, 0x3f6eb680, v140, -v141
	v_add_f32_e32 v186, v137, v135
	s_delay_alu instid0(VALU_DEP_4) | instskip(NEXT) | instid1(VALU_DEP_4)
	v_dual_add_f32 v22, v131, v133 :: v_dual_add_f32 v179, v130, v179
	v_add_f32_e32 v195, v130, v129
	s_delay_alu instid0(VALU_DEP_4) | instskip(SKIP_3) | instid1(VALU_DEP_3)
	v_add_f32_e32 v23, v130, v140
	v_dual_fmamk_f32 v130, v154, 0x3ee437d1, v167 :: v_dual_sub_f32 v137, v135, v137
	v_add_f32_e32 v176, v131, v176
	v_dual_add_f32 v177, v131, v177 :: v_dual_sub_f32 v140, v134, v136
	v_add_f32_e32 v130, v130, v166
	v_mul_f32_e32 v166, 0xbf7ee86f, v148
	v_mul_f32_e32 v169, 0x3f4c4adb, v153
	v_mul_f32_e32 v171, 0xbe3c28d5, v138
	v_mul_f32_e32 v135, 0xbf06c442, v148
	v_mul_f32_e32 v172, 0x3f65296c, v143
	v_fmamk_f32 v131, v163, 0x3dbcf732, v166
	v_mul_f32_e32 v208, 0xbf763a35, v140
	s_delay_alu instid0(VALU_DEP_4) | instskip(NEXT) | instid1(VALU_DEP_3)
	v_dual_add_f32 v136, v136, v134 :: v_dual_fmamk_f32 v133, v163, 0xbf59a7d5, v135
	v_dual_mul_f32 v209, 0xbf763a35, v137 :: v_dual_add_f32 v130, v131, v130
	v_fmamk_f32 v131, v162, 0xbf1a4643, v169
	v_add_f32_e32 v129, v238, v128
	v_add_f32_e32 v128, v237, v132
	v_fma_f32 v132, 0x3dbcf732, v144, -v178
	v_mul_f32_e32 v170, 0xbeb8f4ab, v156
	v_add_f32_e32 v130, v131, v130
	v_mul_f32_e32 v134, 0x3eb8f4ab, v145
	v_dual_mul_f32 v219, 0x3f7ee86f, v140 :: v_dual_mul_f32 v220, 0x3f7ee86f, v137
	s_delay_alu instid0(VALU_DEP_4) | instskip(SKIP_3) | instid1(VALU_DEP_4)
	v_fmamk_f32 v131, v161, 0x3f6eb680, v170
	v_mul_f32_e32 v221, 0xbf1a4643, v186
	v_mul_f32_e32 v222, 0xbf4c4adb, v137
	v_mul_f32_e32 v238, 0x3eb8f4ab, v151
	v_dual_mul_f32 v255, 0xbeb8f4ab, v157 :: v_dual_add_f32 v130, v131, v130
	v_fmamk_f32 v131, v159, 0xbf7ba420, v171
	v_fma_f32 v167, 0x3ee437d1, v154, -v167
	v_mul_f32_e32 v225, 0x3f6eb680, v162
	v_mul_f32_e32 v244, 0x3f3d2fb0, v186
	;; [unrolled: 1-line block ×3, first 2 shown]
	v_add_f32_e32 v130, v131, v130
	v_fma_f32 v131, 0x3ee437d1, v142, -v172
	v_mul_f32_e32 v237, 0xbf1a4643, v168
	v_mul_f32_e32 v253, 0x3f763a35, v151
	;; [unrolled: 1-line block ×3, first 2 shown]
	s_delay_alu instid0(VALU_DEP_4)
	v_dual_mov_b32 v164, v230 :: v_dual_add_f32 v131, v131, v181
	v_mul_f32_e32 v181, 0x3f2c7751, v146
	v_fma_f32 v166, 0x3dbcf732, v163, -v166
	v_mul_f32_e32 v245, 0x3f2c7751, v137
	v_mul_f32_e32 v11, 0xbe3c28d5, v137
	v_add_f32_e32 v131, v132, v131
	v_fmamk_f32 v132, v168, 0x3f3d2fb0, v181
	v_mul_f32_e32 v10, 0xbf7ba420, v186
	v_dual_mul_f32 v229, 0xbf7ee86f, v158 :: v_dual_mul_f32 v236, 0xbf7ee86f, v143
	s_delay_alu instid0(VALU_DEP_3) | instskip(SKIP_4) | instid1(VALU_DEP_4)
	v_dual_mov_b32 v165, v231 :: v_dual_add_f32 v130, v132, v130
	v_fma_f32 v132, 0xbf1a4643, v150, -v204
	v_dual_mov_b32 v17, v233 :: v_dual_mul_f32 v232, 0x3dbcf732, v154
	v_mov_b32_e32 v19, v235
	v_mul_f32_e32 v235, 0xbf59a7d5, v161
	v_add_f32_e32 v131, v132, v131
	v_fma_f32 v132, 0x3f6eb680, v152, -v205
	v_mul_f32_e32 v231, 0xbf06c442, v137
	v_dual_mov_b32 v13, v201 :: v_dual_mul_f32 v4, 0x3eb8f4ab, v137
	s_delay_alu instid0(VALU_DEP_3) | instskip(SKIP_4) | instid1(VALU_DEP_4)
	v_dual_mul_f32 v234, 0xbf7ba420, v162 :: v_dual_add_f32 v131, v132, v131
	v_fma_f32 v132, 0xbf7ba420, v139, -v206
	v_mul_f32_e32 v230, 0xbf59a7d5, v186
	v_dual_mul_f32 v200, 0x3ee437d1, v168 :: v_dual_mov_b32 v21, v241
	v_fmamk_f32 v5, v136, 0x3f6eb680, v4
	v_add_f32_e32 v131, v132, v131
	v_fma_f32 v132, 0x3f3d2fb0, v147, -v207
	v_fmamk_f32 v7, v148, 0x3f65296c, v6
	v_fma_f32 v4, 0x3f6eb680, v136, -v4
	v_fmamk_f32 v9, v147, 0xbf59a7d5, v8
	v_fmac_f32_e32 v6, 0xbf65296c, v148
	v_dual_add_f32 v132, v132, v131 :: v_dual_fmamk_f32 v131, v186, 0xbe8c1d8e, v208
	s_delay_alu instid0(VALU_DEP_1) | instskip(SKIP_3) | instid1(VALU_DEP_3)
	v_add_f32_e32 v131, v131, v130
	v_fma_f32 v130, 0xbe8c1d8e, v136, -v209
	v_dual_add_f32 v167, v167, v196 :: v_dual_fmac_f32 v172, 0x3ee437d1, v142
	v_mul_f32_e32 v196, 0xbf7ba420, v168
	v_dual_mul_f32 v201, 0xbe3c28d5, v151 :: v_dual_add_f32 v130, v130, v132
	v_fmamk_f32 v132, v154, 0x3f6eb680, v134
	v_fma_f32 v134, 0x3f6eb680, v154, -v134
	v_add_f32_e32 v166, v166, v167
	v_fma_f32 v167, 0xbf1a4643, v162, -v169
	v_fma_f32 v169, 0xbf7ba420, v159, -v171
	v_add_f32_e32 v132, v132, v193
	v_dual_mul_f32 v193, 0x3f2c7751, v153 :: v_dual_add_f32 v134, v134, v194
	s_delay_alu instid0(VALU_DEP_4) | instskip(NEXT) | instid1(VALU_DEP_2)
	v_dual_mul_f32 v211, 0x3eb8f4ab, v143 :: v_dual_add_f32 v166, v167, v166
	v_dual_add_f32 v132, v133, v132 :: v_dual_fmamk_f32 v133, v162, 0x3f3d2fb0, v193
	v_fma_f32 v167, 0x3f6eb680, v161, -v170
	v_mul_f32_e32 v194, 0x3f763a35, v143
	s_delay_alu instid0(VALU_DEP_3) | instskip(NEXT) | instid1(VALU_DEP_3)
	v_add_f32_e32 v132, v133, v132
	v_dual_fmamk_f32 v133, v161, 0xbf1a4643, v210 :: v_dual_add_f32 v166, v167, v166
	v_add_f32_e32 v167, v172, v180
	v_fmac_f32_e32 v207, 0x3f3d2fb0, v147
	v_mul_f32_e32 v180, 0x3f6eb680, v163
	s_delay_alu instid0(VALU_DEP_4) | instskip(SKIP_1) | instid1(VALU_DEP_1)
	v_add_f32_e32 v132, v133, v132
	v_fma_f32 v133, 0x3f6eb680, v142, -v211
	v_dual_fmamk_f32 v170, v148, 0x3eb8f4ab, v180 :: v_dual_add_f32 v133, v133, v179
	v_mul_f32_e32 v179, 0x3f65296c, v138
	s_delay_alu instid0(VALU_DEP_1) | instskip(NEXT) | instid1(VALU_DEP_1)
	v_fmamk_f32 v212, v159, 0x3ee437d1, v179
	v_add_f32_e32 v132, v212, v132
	v_mul_f32_e32 v212, 0xbf06c442, v149
	v_fma_f32 v135, 0xbf59a7d5, v163, -v135
	v_fmac_f32_e32 v209, 0xbe8c1d8e, v136
	s_delay_alu instid0(VALU_DEP_3) | instskip(NEXT) | instid1(VALU_DEP_3)
	v_fma_f32 v213, 0xbf59a7d5, v144, -v212
	v_add_f32_e32 v134, v135, v134
	s_delay_alu instid0(VALU_DEP_2)
	v_dual_fmac_f32 v212, 0xbf59a7d5, v144 :: v_dual_add_f32 v133, v213, v133
	v_mul_f32_e32 v213, 0xbf763a35, v146
	v_fmac_f32_e32 v204, 0xbf1a4643, v150
	v_fmac_f32_e32 v178, 0x3dbcf732, v144
	v_add_f32_e32 v166, v169, v166
	v_fma_f32 v169, 0x3f3d2fb0, v168, -v181
	s_delay_alu instid0(VALU_DEP_3) | instskip(NEXT) | instid1(VALU_DEP_1)
	v_dual_fmamk_f32 v214, v168, 0xbe8c1d8e, v213 :: v_dual_add_f32 v167, v178, v167
	v_add_f32_e32 v132, v214, v132
	v_mul_f32_e32 v214, 0x3f2c7751, v151
	v_fma_f32 v193, 0x3f3d2fb0, v162, -v193
	s_delay_alu instid0(VALU_DEP_4) | instskip(SKIP_1) | instid1(VALU_DEP_4)
	v_add_f32_e32 v167, v204, v167
	v_mul_f32_e32 v204, 0xbf06c442, v151
	v_fma_f32 v215, 0x3f3d2fb0, v150, -v214
	s_delay_alu instid0(VALU_DEP_4) | instskip(NEXT) | instid1(VALU_DEP_2)
	v_add_f32_e32 v134, v193, v134
	v_dual_fmac_f32 v214, 0x3f3d2fb0, v150 :: v_dual_add_f32 v133, v215, v133
	v_mul_f32_e32 v215, 0xbf4c4adb, v160
	s_delay_alu instid0(VALU_DEP_1) | instskip(NEXT) | instid1(VALU_DEP_1)
	v_fma_f32 v216, 0xbf1a4643, v152, -v215
	v_add_f32_e32 v133, v216, v133
	v_mul_f32_e32 v216, 0x3f65296c, v157
	v_fma_f32 v193, 0xbf1a4643, v161, -v210
	v_fma_f32 v179, 0x3ee437d1, v159, -v179
	v_mul_f32_e32 v210, 0xbf59a7d5, v154
	s_delay_alu instid0(VALU_DEP_4) | instskip(NEXT) | instid1(VALU_DEP_4)
	v_fma_f32 v217, 0x3ee437d1, v139, -v216
	v_dual_add_f32 v134, v193, v134 :: v_dual_mul_f32 v193, 0x3dbcf732, v161
	s_delay_alu instid0(VALU_DEP_2) | instskip(SKIP_1) | instid1(VALU_DEP_3)
	v_add_f32_e32 v133, v217, v133
	v_mul_f32_e32 v217, 0xbf763a35, v158
	v_add_f32_e32 v134, v179, v134
	v_fma_f32 v179, 0xbe8c1d8e, v168, -v213
	v_fmac_f32_e32 v215, 0xbf1a4643, v152
	v_mul_f32_e32 v213, 0xbf7ba420, v161
	v_fma_f32 v218, 0xbe8c1d8e, v147, -v217
	s_delay_alu instid0(VALU_DEP_4) | instskip(SKIP_1) | instid1(VALU_DEP_3)
	v_dual_fmac_f32 v217, 0xbe8c1d8e, v147 :: v_dual_add_f32 v134, v179, v134
	v_fmac_f32_e32 v216, 0x3ee437d1, v139
	v_add_f32_e32 v218, v218, v133
	v_dual_add_f32 v166, v169, v166 :: v_dual_fmac_f32 v205, 0x3f6eb680, v152
	v_fmac_f32_e32 v206, 0xbf7ba420, v139
	v_fmamk_f32 v133, v186, 0x3dbcf732, v219
	s_delay_alu instid0(VALU_DEP_3) | instskip(SKIP_1) | instid1(VALU_DEP_3)
	v_add_f32_e32 v167, v205, v167
	v_mul_f32_e32 v205, 0x3f7ee86f, v160
	v_add_f32_e32 v133, v133, v132
	v_fma_f32 v132, 0x3dbcf732, v136, -v220
	s_delay_alu instid0(VALU_DEP_4) | instskip(SKIP_1) | instid1(VALU_DEP_3)
	v_dual_fmac_f32 v220, 0x3dbcf732, v136 :: v_dual_add_f32 v167, v206, v167
	v_mul_f32_e32 v206, 0xbf2c7751, v157
	v_add_f32_e32 v132, v132, v218
	s_delay_alu instid0(VALU_DEP_3) | instskip(SKIP_4) | instid1(VALU_DEP_3)
	v_dual_mul_f32 v218, 0xbe3c28d5, v160 :: v_dual_add_f32 v169, v207, v167
	v_fmac_f32_e32 v211, 0x3f6eb680, v142
	v_fma_f32 v167, 0xbe8c1d8e, v186, -v208
	v_mul_f32_e32 v207, 0xbe3c28d5, v158
	v_mul_f32_e32 v208, 0x3ee437d1, v186
	v_dual_add_f32 v167, v167, v166 :: v_dual_add_f32 v166, v209, v169
	v_add_f32_e32 v135, v211, v195
	v_mul_f32_e32 v195, 0xbeb8f4ab, v149
	v_mul_f32_e32 v211, 0x3f3d2fb0, v163
	s_delay_alu instid0(VALU_DEP_3) | instskip(SKIP_1) | instid1(VALU_DEP_3)
	v_dual_add_f32 v135, v212, v135 :: v_dual_mul_f32 v212, 0x3ee437d1, v162
	v_mul_f32_e32 v209, 0x3f65296c, v137
	v_fmamk_f32 v172, v148, 0xbf2c7751, v211
	v_fmamk_f32 v137, v140, 0x3e3c28d5, v10
	s_delay_alu instid0(VALU_DEP_4)
	v_add_f32_e32 v135, v214, v135
	v_mul_f32_e32 v214, 0x3f06c442, v143
	v_mul_f32_e32 v181, 0xbf59a7d5, v162
	;; [unrolled: 1-line block ×4, first 2 shown]
	v_add_f32_e32 v135, v215, v135
	v_mul_f32_e32 v215, 0x3f2c7751, v149
	v_mul_f32_e32 v143, 0xbf2c7751, v143
	s_delay_alu instid0(VALU_DEP_3) | instskip(NEXT) | instid1(VALU_DEP_1)
	v_dual_add_f32 v135, v216, v135 :: v_dual_mul_f32 v216, 0x3f6eb680, v168
	v_dual_mul_f32 v168, 0xbf59a7d5, v168 :: v_dual_add_f32 v179, v217, v135
	v_fma_f32 v135, 0x3dbcf732, v186, -v219
	v_mul_f32_e32 v217, 0xbf65296c, v151
	v_mul_f32_e32 v219, 0x3f7ee86f, v157
	v_mul_f32_e32 v151, 0xbf7ee86f, v151
	s_delay_alu instid0(VALU_DEP_4) | instskip(SKIP_2) | instid1(VALU_DEP_2)
	v_dual_add_f32 v135, v135, v134 :: v_dual_add_f32 v134, v220, v179
	v_mul_f32_e32 v179, 0xbe8c1d8e, v154
	v_mul_f32_e32 v220, 0xbeb8f4ab, v158
	v_fmamk_f32 v169, v145, 0xbf763a35, v179
	s_delay_alu instid0(VALU_DEP_1) | instskip(NEXT) | instid1(VALU_DEP_1)
	v_add_f32_e32 v169, v169, v173
	v_dual_add_f32 v169, v170, v169 :: v_dual_fmamk_f32 v170, v153, 0x3f06c442, v181
	s_delay_alu instid0(VALU_DEP_1) | instskip(SKIP_1) | instid1(VALU_DEP_1)
	v_dual_fmac_f32 v180, 0xbeb8f4ab, v148 :: v_dual_add_f32 v169, v170, v169
	v_fmamk_f32 v170, v156, 0xbf7ee86f, v193
	v_add_f32_e32 v169, v170, v169
	v_fmamk_f32 v170, v142, 0xbe8c1d8e, v194
	s_delay_alu instid0(VALU_DEP_1) | instskip(SKIP_1) | instid1(VALU_DEP_1)
	v_add_f32_e32 v170, v170, v187
	v_mul_f32_e32 v187, 0x3f3d2fb0, v159
	v_fmamk_f32 v171, v138, 0x3f2c7751, v187
	s_delay_alu instid0(VALU_DEP_1) | instskip(SKIP_1) | instid1(VALU_DEP_1)
	v_add_f32_e32 v169, v171, v169
	v_fmamk_f32 v171, v144, 0x3f6eb680, v195
	v_dual_add_f32 v170, v171, v170 :: v_dual_fmamk_f32 v171, v146, 0x3e3c28d5, v196
	s_delay_alu instid0(VALU_DEP_1) | instskip(SKIP_1) | instid1(VALU_DEP_1)
	v_dual_fmac_f32 v196, 0xbe3c28d5, v146 :: v_dual_add_f32 v169, v171, v169
	v_fmamk_f32 v171, v150, 0xbf59a7d5, v204
	v_dual_add_f32 v170, v171, v170 :: v_dual_fmamk_f32 v171, v152, 0x3dbcf732, v205
	s_delay_alu instid0(VALU_DEP_1) | instskip(SKIP_1) | instid1(VALU_DEP_1)
	v_add_f32_e32 v170, v171, v170
	v_fmamk_f32 v171, v139, 0x3f3d2fb0, v206
	v_dual_fmac_f32 v193, 0x3f7ee86f, v156 :: v_dual_add_f32 v170, v171, v170
	v_fmamk_f32 v171, v147, 0xbf7ba420, v207
	s_delay_alu instid0(VALU_DEP_1) | instskip(SKIP_3) | instid1(VALU_DEP_4)
	v_dual_add_f32 v171, v171, v170 :: v_dual_fmamk_f32 v170, v140, 0xbf65296c, v208
	v_fmac_f32_e32 v208, 0x3f65296c, v140
	v_fmamk_f32 v3, v139, 0xbe8c1d8e, v2
	v_fma_f32 v2, 0xbe8c1d8e, v139, -v2
	v_dual_add_f32 v170, v170, v169 :: v_dual_fmamk_f32 v169, v136, 0x3ee437d1, v209
	v_fmac_f32_e32 v179, 0x3f763a35, v145
	s_delay_alu instid0(VALU_DEP_2) | instskip(SKIP_1) | instid1(VALU_DEP_1)
	v_add_f32_e32 v169, v169, v171
	v_fmamk_f32 v171, v145, 0xbf06c442, v210
	v_dual_fmac_f32 v210, 0x3f06c442, v145 :: v_dual_add_f32 v171, v171, v174
	v_fmamk_f32 v174, v148, 0xbf763a35, v224
	s_delay_alu instid0(VALU_DEP_2) | instskip(NEXT) | instid1(VALU_DEP_1)
	v_dual_add_f32 v171, v172, v171 :: v_dual_fmamk_f32 v172, v153, 0x3f65296c, v212
	v_add_f32_e32 v171, v172, v171
	v_fmamk_f32 v172, v156, 0x3e3c28d5, v213
	s_delay_alu instid0(VALU_DEP_1) | instskip(SKIP_1) | instid1(VALU_DEP_1)
	v_dual_fmac_f32 v212, 0xbf65296c, v153 :: v_dual_add_f32 v171, v172, v171
	v_fmamk_f32 v172, v142, 0xbf59a7d5, v214
	v_dual_fmac_f32 v181, 0xbf06c442, v153 :: v_dual_add_f32 v172, v172, v188
	v_mul_f32_e32 v188, 0x3dbcf732, v159
	v_fmac_f32_e32 v187, 0xbf2c7751, v138
	s_delay_alu instid0(VALU_DEP_2) | instskip(NEXT) | instid1(VALU_DEP_1)
	v_fmamk_f32 v173, v138, 0xbf7ee86f, v188
	v_dual_fmac_f32 v188, 0x3f7ee86f, v138 :: v_dual_add_f32 v171, v173, v171
	v_fmamk_f32 v173, v144, 0x3f3d2fb0, v215
	s_delay_alu instid0(VALU_DEP_1) | instskip(NEXT) | instid1(VALU_DEP_1)
	v_dual_add_f32 v172, v173, v172 :: v_dual_fmamk_f32 v173, v146, 0x3eb8f4ab, v216
	v_dual_fmac_f32 v216, 0xbeb8f4ab, v146 :: v_dual_add_f32 v171, v173, v171
	v_fmamk_f32 v173, v150, 0x3ee437d1, v217
	s_delay_alu instid0(VALU_DEP_1) | instskip(NEXT) | instid1(VALU_DEP_1)
	v_dual_add_f32 v172, v173, v172 :: v_dual_fmamk_f32 v173, v152, 0xbf7ba420, v218
	v_dual_add_f32 v172, v173, v172 :: v_dual_fmamk_f32 v173, v139, 0x3dbcf732, v219
	s_delay_alu instid0(VALU_DEP_1) | instskip(NEXT) | instid1(VALU_DEP_1)
	v_dual_add_f32 v172, v173, v172 :: v_dual_fmamk_f32 v173, v147, 0x3f6eb680, v220
	v_dual_add_f32 v173, v173, v172 :: v_dual_fmamk_f32 v172, v140, 0x3f4c4adb, v221
	s_delay_alu instid0(VALU_DEP_1) | instskip(SKIP_1) | instid1(VALU_DEP_1)
	v_add_f32_e32 v172, v172, v171
	v_fmamk_f32 v171, v136, 0xbf1a4643, v222
	v_add_f32_e32 v171, v171, v173
	v_fmamk_f32 v173, v145, 0x3e3c28d5, v223
	s_delay_alu instid0(VALU_DEP_1) | instskip(NEXT) | instid1(VALU_DEP_1)
	v_add_f32_e32 v173, v173, v175
	v_dual_add_f32 v173, v174, v173 :: v_dual_fmamk_f32 v174, v153, 0xbeb8f4ab, v225
	s_delay_alu instid0(VALU_DEP_1) | instskip(SKIP_1) | instid1(VALU_DEP_1)
	v_dual_fmac_f32 v224, 0x3f763a35, v148 :: v_dual_add_f32 v173, v174, v173
	v_fmamk_f32 v174, v156, 0x3f65296c, v226
	v_dual_fmac_f32 v226, 0xbf65296c, v156 :: v_dual_add_f32 v173, v174, v173
	v_fmamk_f32 v174, v142, 0xbf7ba420, v227
	s_delay_alu instid0(VALU_DEP_1) | instskip(SKIP_1) | instid1(VALU_DEP_1)
	v_dual_fmac_f32 v213, 0xbe3c28d5, v156 :: v_dual_add_f32 v174, v174, v189
	v_mul_f32_e32 v189, 0xbf59a7d5, v159
	v_fmamk_f32 v175, v138, 0x3f06c442, v189
	s_delay_alu instid0(VALU_DEP_1) | instskip(SKIP_1) | instid1(VALU_DEP_1)
	v_add_f32_e32 v173, v175, v173
	v_fmamk_f32 v175, v144, 0xbe8c1d8e, v228
	v_dual_add_f32 v174, v175, v174 :: v_dual_fmamk_f32 v175, v146, 0xbf4c4adb, v237
	v_fmac_f32_e32 v211, 0x3f2c7751, v148
	s_delay_alu instid0(VALU_DEP_2) | instskip(SKIP_1) | instid1(VALU_DEP_1)
	v_add_f32_e32 v173, v175, v173
	v_fmamk_f32 v175, v150, 0x3f6eb680, v238
	v_dual_add_f32 v174, v175, v174 :: v_dual_fmamk_f32 v175, v152, 0x3ee437d1, v240
	s_delay_alu instid0(VALU_DEP_1) | instskip(SKIP_1) | instid1(VALU_DEP_1)
	v_add_f32_e32 v174, v175, v174
	v_fmamk_f32 v175, v139, 0xbf59a7d5, v242
	v_add_f32_e32 v174, v175, v174
	v_fmamk_f32 v175, v147, 0xbf1a4643, v243
	s_delay_alu instid0(VALU_DEP_1) | instskip(SKIP_1) | instid1(VALU_DEP_2)
	v_dual_add_f32 v175, v175, v174 :: v_dual_fmamk_f32 v174, v140, 0xbf2c7751, v244
	v_fmac_f32_e32 v244, 0x3f2c7751, v140
	v_dual_add_f32 v174, v174, v173 :: v_dual_fmamk_f32 v173, v136, 0x3f3d2fb0, v245
	v_fmac_f32_e32 v221, 0xbf4c4adb, v140
	s_delay_alu instid0(VALU_DEP_2) | instskip(SKIP_1) | instid1(VALU_DEP_1)
	v_add_f32_e32 v173, v173, v175
	v_fmamk_f32 v175, v145, 0x3f4c4adb, v246
	v_dual_fmac_f32 v246, 0xbf4c4adb, v145 :: v_dual_add_f32 v175, v175, v176
	v_fmamk_f32 v176, v148, 0xbe3c28d5, v247
	v_fmac_f32_e32 v247, 0x3e3c28d5, v148
	s_delay_alu instid0(VALU_DEP_2) | instskip(NEXT) | instid1(VALU_DEP_1)
	v_dual_add_f32 v175, v176, v175 :: v_dual_fmamk_f32 v176, v153, 0xbf763a35, v248
	v_dual_fmac_f32 v248, 0x3f763a35, v153 :: v_dual_add_f32 v175, v176, v175
	v_fmamk_f32 v176, v156, 0xbf2c7751, v249
	s_delay_alu instid0(VALU_DEP_1) | instskip(SKIP_1) | instid1(VALU_DEP_2)
	v_dual_add_f32 v175, v176, v175 :: v_dual_fmamk_f32 v176, v142, 0xbf1a4643, v250
	v_fmac_f32_e32 v237, 0x3f4c4adb, v146
	v_add_f32_e32 v176, v176, v190
	v_mul_f32_e32 v190, 0x3f6eb680, v159
	s_delay_alu instid0(VALU_DEP_1) | instskip(NEXT) | instid1(VALU_DEP_1)
	v_fmamk_f32 v178, v138, 0x3eb8f4ab, v190
	v_dual_fmac_f32 v190, 0xbeb8f4ab, v138 :: v_dual_add_f32 v175, v178, v175
	v_fmamk_f32 v178, v144, 0xbf7ba420, v251
	s_delay_alu instid0(VALU_DEP_1) | instskip(SKIP_1) | instid1(VALU_DEP_1)
	v_dual_fmac_f32 v223, 0xbe3c28d5, v145 :: v_dual_add_f32 v176, v178, v176
	v_fmamk_f32 v178, v146, 0x3f7ee86f, v252
	v_add_f32_e32 v175, v178, v175
	v_fmamk_f32 v178, v150, 0xbe8c1d8e, v253
	v_fmac_f32_e32 v252, 0xbf7ee86f, v146
	s_delay_alu instid0(VALU_DEP_2) | instskip(SKIP_2) | instid1(VALU_DEP_2)
	v_add_f32_e32 v176, v178, v176
	v_fmamk_f32 v178, v152, 0x3f3d2fb0, v254
	v_fmac_f32_e32 v249, 0x3f2c7751, v156
	v_add_f32_e32 v176, v178, v176
	v_fmamk_f32 v178, v139, 0x3f6eb680, v255
	s_delay_alu instid0(VALU_DEP_1) | instskip(SKIP_1) | instid1(VALU_DEP_1)
	v_dual_fmac_f32 v225, 0x3eb8f4ab, v153 :: v_dual_add_f32 v176, v178, v176
	v_fmamk_f32 v178, v147, 0x3dbcf732, v229
	v_dual_fmac_f32 v189, 0xbf06c442, v138 :: v_dual_add_f32 v178, v178, v176
	v_fmamk_f32 v176, v140, 0x3f06c442, v230
	v_fmac_f32_e32 v230, 0xbf06c442, v140
	v_fmamk_f32 v1, v152, 0xbf59a7d5, v0
	v_fma_f32 v0, 0xbf59a7d5, v152, -v0
	s_delay_alu instid0(VALU_DEP_4) | instskip(SKIP_1) | instid1(VALU_DEP_1)
	v_add_f32_e32 v176, v176, v175
	v_fmamk_f32 v175, v136, 0xbf59a7d5, v231
	v_dual_add_f32 v175, v175, v178 :: v_dual_fmamk_f32 v178, v145, 0x3f7ee86f, v232
	v_fmac_f32_e32 v232, 0xbf7ee86f, v145
	s_delay_alu instid0(VALU_DEP_2) | instskip(NEXT) | instid1(VALU_DEP_1)
	v_dual_add_f32 v177, v178, v177 :: v_dual_fmamk_f32 v178, v148, 0x3f4c4adb, v233
	v_dual_add_f32 v177, v178, v177 :: v_dual_fmamk_f32 v178, v153, 0x3e3c28d5, v234
	v_fmac_f32_e32 v234, 0xbe3c28d5, v153
	s_delay_alu instid0(VALU_DEP_2) | instskip(SKIP_1) | instid1(VALU_DEP_2)
	v_dual_add_f32 v177, v178, v177 :: v_dual_fmamk_f32 v178, v156, 0xbf06c442, v235
	v_fmac_f32_e32 v235, 0x3f06c442, v156
	v_add_f32_e32 v177, v178, v177
	v_fmamk_f32 v178, v142, 0x3dbcf732, v236
	s_delay_alu instid0(VALU_DEP_1) | instskip(SKIP_2) | instid1(VALU_DEP_2)
	v_add_f32_e32 v178, v178, v191
	v_mul_f32_e32 v191, 0xbe8c1d8e, v159
	v_fmamk_f32 v159, v138, 0x3f4c4adb, v163
	v_fmamk_f32 v241, v138, 0xbf763a35, v191
	s_delay_alu instid0(VALU_DEP_1) | instskip(SKIP_2) | instid1(VALU_DEP_2)
	v_add_f32_e32 v177, v241, v177
	v_mul_f32_e32 v241, 0xbf4c4adb, v149
	v_mul_f32_e32 v149, 0xbf65296c, v149
	v_fmamk_f32 v141, v144, 0xbf1a4643, v241
	s_delay_alu instid0(VALU_DEP_1) | instskip(NEXT) | instid1(VALU_DEP_1)
	v_dual_add_f32 v141, v141, v178 :: v_dual_fmamk_f32 v178, v146, 0xbf65296c, v200
	v_dual_fmac_f32 v200, 0x3f65296c, v146 :: v_dual_add_f32 v177, v178, v177
	v_fmamk_f32 v178, v150, 0xbf7ba420, v201
	s_delay_alu instid0(VALU_DEP_1) | instskip(NEXT) | instid1(VALU_DEP_1)
	v_add_f32_e32 v141, v178, v141
	v_add_f32_e32 v1, v1, v141
	s_delay_alu instid0(VALU_DEP_1) | instskip(SKIP_1) | instid1(VALU_DEP_1)
	v_add_f32_e32 v1, v3, v1
	v_mul_f32_e32 v3, 0x3f65296c, v158
	v_fmamk_f32 v141, v147, 0x3ee437d1, v3
	s_delay_alu instid0(VALU_DEP_1) | instskip(SKIP_1) | instid1(VALU_DEP_1)
	v_add_f32_e32 v1, v141, v1
	v_mul_f32_e32 v141, 0x3f6eb680, v186
	v_fmamk_f32 v178, v140, 0xbeb8f4ab, v141
	s_delay_alu instid0(VALU_DEP_1) | instskip(NEXT) | instid1(VALU_DEP_4)
	v_add_f32_e32 v178, v178, v177
	v_add_f32_e32 v177, v5, v1
	v_mul_f32_e32 v1, 0x3f3d2fb0, v154
	s_delay_alu instid0(VALU_DEP_1) | instskip(NEXT) | instid1(VALU_DEP_1)
	v_fmamk_f32 v5, v145, 0x3f2c7751, v1
	v_add_f32_e32 v5, v5, v197
	v_mul_f32_e32 v197, 0xbf4c4adb, v157
	s_delay_alu instid0(VALU_DEP_2) | instskip(SKIP_1) | instid1(VALU_DEP_3)
	v_add_f32_e32 v5, v7, v5
	v_mul_f32_e32 v7, 0x3dbcf732, v162
	v_fmamk_f32 v157, v139, 0xbf1a4643, v197
	s_delay_alu instid0(VALU_DEP_2) | instskip(NEXT) | instid1(VALU_DEP_1)
	v_fmamk_f32 v154, v153, 0x3f7ee86f, v7
	v_add_f32_e32 v5, v154, v5
	v_mul_f32_e32 v154, 0xbe8c1d8e, v161
	v_fmac_f32_e32 v191, 0x3f763a35, v138
	s_delay_alu instid0(VALU_DEP_2) | instskip(NEXT) | instid1(VALU_DEP_1)
	v_fmamk_f32 v161, v156, 0x3f763a35, v154
	v_dual_fmac_f32 v154, 0xbf763a35, v156 :: v_dual_add_f32 v5, v161, v5
	v_fmamk_f32 v161, v146, 0x3f06c442, v168
	s_delay_alu instid0(VALU_DEP_2) | instskip(SKIP_1) | instid1(VALU_DEP_2)
	v_dual_fmac_f32 v168, 0xbf06c442, v146 :: v_dual_add_f32 v5, v159, v5
	v_fmamk_f32 v159, v142, 0x3f3d2fb0, v143
	v_add_f32_e32 v5, v161, v5
	s_delay_alu instid0(VALU_DEP_2) | instskip(SKIP_2) | instid1(VALU_DEP_4)
	v_add_f32_e32 v159, v159, v192
	v_fmamk_f32 v161, v144, 0x3ee437d1, v149
	v_mul_f32_e32 v192, 0xbf763a35, v160
	v_dual_add_f32 v158, v137, v5 :: v_dual_fmamk_f32 v5, v136, 0xbf7ba420, v11
	s_delay_alu instid0(VALU_DEP_3) | instskip(SKIP_1) | instid1(VALU_DEP_4)
	v_add_f32_e32 v159, v161, v159
	v_fmamk_f32 v161, v150, 0x3dbcf732, v151
	v_fmamk_f32 v160, v152, 0xbe8c1d8e, v192
	v_fma_f32 v137, 0x3f6eb680, v144, -v195
	v_fmac_f32_e32 v233, 0xbf4c4adb, v148
	s_delay_alu instid0(VALU_DEP_4) | instskip(NEXT) | instid1(VALU_DEP_1)
	v_dual_fmac_f32 v10, 0xbe3c28d5, v140 :: v_dual_add_f32 v159, v161, v159
	v_add_f32_e32 v159, v160, v159
	s_delay_alu instid0(VALU_DEP_1) | instskip(NEXT) | instid1(VALU_DEP_1)
	v_add_f32_e32 v157, v157, v159
	v_add_f32_e32 v9, v9, v157
	s_delay_alu instid0(VALU_DEP_1) | instskip(SKIP_2) | instid1(VALU_DEP_2)
	v_add_f32_e32 v157, v5, v9
	v_fma_f32 v9, 0xbe8c1d8e, v142, -v194
	v_add_f32_e32 v5, v179, v198
	v_add_f32_e32 v9, v9, v182
	s_delay_alu instid0(VALU_DEP_2) | instskip(NEXT) | instid1(VALU_DEP_2)
	v_add_f32_e32 v5, v180, v5
	v_add_f32_e32 v9, v137, v9
	v_fma_f32 v137, 0xbf59a7d5, v150, -v204
	s_delay_alu instid0(VALU_DEP_3) | instskip(NEXT) | instid1(VALU_DEP_2)
	v_add_f32_e32 v5, v181, v5
	v_add_f32_e32 v9, v137, v9
	v_fma_f32 v137, 0x3dbcf732, v152, -v205
	s_delay_alu instid0(VALU_DEP_3) | instskip(NEXT) | instid1(VALU_DEP_2)
	;; [unrolled: 4-line block ×4, first 2 shown]
	v_add_f32_e32 v5, v196, v5
	v_add_f32_e32 v9, v137, v9
	v_fma_f32 v137, 0x3ee437d1, v136, -v209
	s_delay_alu instid0(VALU_DEP_1) | instskip(SKIP_3) | instid1(VALU_DEP_3)
	v_add_f32_e32 v159, v137, v9
	v_fma_f32 v9, 0xbf59a7d5, v142, -v214
	v_fma_f32 v137, 0x3f3d2fb0, v144, -v215
	v_dual_add_f32 v160, v208, v5 :: v_dual_add_f32 v5, v210, v199
	v_add_f32_e32 v9, v9, v183
	s_delay_alu instid0(VALU_DEP_2) | instskip(NEXT) | instid1(VALU_DEP_2)
	v_add_f32_e32 v5, v211, v5
	v_add_f32_e32 v9, v137, v9
	v_fma_f32 v137, 0x3ee437d1, v150, -v217
	s_delay_alu instid0(VALU_DEP_3) | instskip(NEXT) | instid1(VALU_DEP_2)
	v_add_f32_e32 v5, v212, v5
	v_add_f32_e32 v9, v137, v9
	v_fma_f32 v137, 0xbf7ba420, v152, -v218
	s_delay_alu instid0(VALU_DEP_3) | instskip(NEXT) | instid1(VALU_DEP_2)
	;; [unrolled: 4-line block ×5, first 2 shown]
	v_dual_add_f32 v162, v221, v5 :: v_dual_add_f32 v5, v223, v202
	v_add_f32_e32 v161, v137, v9
	v_fma_f32 v9, 0xbf7ba420, v142, -v227
	v_fma_f32 v137, 0xbe8c1d8e, v144, -v228
	s_delay_alu instid0(VALU_DEP_4) | instskip(NEXT) | instid1(VALU_DEP_3)
	v_add_f32_e32 v5, v224, v5
	v_add_f32_e32 v9, v9, v184
	s_delay_alu instid0(VALU_DEP_2) | instskip(NEXT) | instid1(VALU_DEP_2)
	v_add_f32_e32 v5, v225, v5
	v_add_f32_e32 v9, v137, v9
	v_fma_f32 v137, 0x3f6eb680, v150, -v238
	s_delay_alu instid0(VALU_DEP_3) | instskip(NEXT) | instid1(VALU_DEP_2)
	v_add_f32_e32 v5, v226, v5
	v_add_f32_e32 v9, v137, v9
	v_fma_f32 v137, 0x3ee437d1, v152, -v240
	s_delay_alu instid0(VALU_DEP_3) | instskip(NEXT) | instid1(VALU_DEP_2)
	;; [unrolled: 4-line block ×3, first 2 shown]
	v_add_f32_e32 v5, v237, v5
	v_add_f32_e32 v9, v137, v9
	v_fma_f32 v137, 0xbf1a4643, v147, -v243
	s_delay_alu instid0(VALU_DEP_1) | instskip(SKIP_1) | instid1(VALU_DEP_1)
	v_add_f32_e32 v9, v137, v9
	v_fma_f32 v137, 0x3f3d2fb0, v136, -v245
	v_add_f32_e32 v179, v137, v9
	v_fma_f32 v9, 0xbf1a4643, v142, -v250
	v_fma_f32 v137, 0xbf7ba420, v144, -v251
	v_dual_add_f32 v180, v244, v5 :: v_dual_add_f32 v5, v246, v203
	v_fma_f32 v3, 0x3ee437d1, v147, -v3
	s_delay_alu instid0(VALU_DEP_4) | instskip(NEXT) | instid1(VALU_DEP_3)
	v_add_f32_e32 v9, v9, v185
	v_add_f32_e32 v5, v247, v5
	s_delay_alu instid0(VALU_DEP_2) | instskip(SKIP_1) | instid1(VALU_DEP_3)
	v_add_f32_e32 v9, v137, v9
	v_fma_f32 v137, 0xbe8c1d8e, v150, -v253
	v_add_f32_e32 v5, v248, v5
	s_delay_alu instid0(VALU_DEP_2) | instskip(SKIP_1) | instid1(VALU_DEP_3)
	v_add_f32_e32 v9, v137, v9
	v_fma_f32 v137, 0x3f3d2fb0, v152, -v254
	;; [unrolled: 4-line block ×4, first 2 shown]
	v_add_f32_e32 v5, v252, v5
	v_mov_b32_e32 v229, v14
	s_delay_alu instid0(VALU_DEP_3) | instskip(SKIP_1) | instid1(VALU_DEP_4)
	v_add_f32_e32 v9, v137, v9
	v_fma_f32 v137, 0xbf59a7d5, v136, -v231
	v_dual_add_f32 v182, v230, v5 :: v_dual_mov_b32 v231, v165
	v_mov_b32_e32 v230, v164
	v_add_f32_e32 v5, v232, v155
	s_delay_alu instid0(VALU_DEP_4) | instskip(SKIP_4) | instid1(VALU_DEP_4)
	v_add_f32_e32 v181, v137, v9
	v_fma_f32 v9, 0x3dbcf732, v142, -v236
	v_fma_f32 v137, 0x3f3d2fb0, v142, -v143
	;; [unrolled: 1-line block ×3, first 2 shown]
	v_dual_mov_b32 v236, v20 :: v_dual_fmac_f32 v1, 0xbf2c7751, v145
	v_add_f32_e32 v9, v9, v15
	v_fma_f32 v143, 0xbf7ba420, v150, -v201
	v_add_f32_e32 v137, v137, v23
	v_add_f32_e32 v5, v233, v5
	;; [unrolled: 1-line block ×4, first 2 shown]
	v_fma_f32 v142, 0x3ee437d1, v144, -v149
	v_mov_b32_e32 v233, v17
	v_add_f32_e32 v5, v234, v5
	v_add_f32_e32 v1, v6, v1
	;; [unrolled: 1-line block ×4, first 2 shown]
	v_fma_f32 v137, 0x3dbcf732, v150, -v151
	v_add_f32_e32 v5, v235, v5
	s_delay_alu instid0(VALU_DEP_4) | instskip(NEXT) | instid1(VALU_DEP_3)
	v_dual_mov_b32 v235, v19 :: v_dual_add_f32 v0, v0, v9
	v_dual_fmac_f32 v7, 0xbf7ee86f, v153 :: v_dual_add_f32 v6, v137, v6
	s_delay_alu instid0(VALU_DEP_3) | instskip(NEXT) | instid1(VALU_DEP_2)
	v_dual_add_f32 v5, v191, v5 :: v_dual_mov_b32 v232, v16
	v_dual_add_f32 v0, v2, v0 :: v_dual_add_f32 v1, v7, v1
	v_fma_f32 v7, 0xbe8c1d8e, v152, -v192
	s_delay_alu instid0(VALU_DEP_3) | instskip(NEXT) | instid1(VALU_DEP_3)
	v_add_f32_e32 v5, v200, v5
	v_dual_mov_b32 v201, v13 :: v_dual_add_f32 v0, v3, v0
	s_delay_alu instid0(VALU_DEP_3) | instskip(SKIP_4) | instid1(VALU_DEP_4)
	v_dual_add_f32 v1, v154, v1 :: v_dual_add_f32 v2, v7, v6
	v_fmac_f32_e32 v163, 0xbf4c4adb, v138
	v_fma_f32 v6, 0xbf1a4643, v139, -v197
	v_fma_f32 v3, 0xbf59a7d5, v147, -v8
	v_mov_b32_e32 v234, v18
	v_dual_mov_b32 v200, v12 :: v_dual_add_f32 v1, v163, v1
	s_delay_alu instid0(VALU_DEP_4) | instskip(SKIP_2) | instid1(VALU_DEP_3)
	v_add_f32_e32 v2, v6, v2
	v_mul_u32_u24_e32 v6, 17, v21
	v_fmac_f32_e32 v141, 0x3eb8f4ab, v140
	v_dual_add_f32 v1, v168, v1 :: v_dual_add_f32 v2, v3, v2
	v_fma_f32 v3, 0xbf7ba420, v136, -v11
	s_delay_alu instid0(VALU_DEP_3) | instskip(NEXT) | instid1(VALU_DEP_3)
	v_dual_add_f32 v137, v141, v5 :: v_dual_lshlrev_b32 v6, 3, v6
	v_dual_add_f32 v136, v4, v0 :: v_dual_add_f32 v139, v10, v1
	s_delay_alu instid0(VALU_DEP_3)
	v_add_f32_e32 v138, v3, v2
	ds_store_2addr_b64 v6, v[128:129], v[157:158] offset1:1
	ds_store_2addr_b64 v6, v[177:178], v[175:176] offset0:2 offset1:3
	ds_store_2addr_b64 v6, v[173:174], v[171:172] offset0:4 offset1:5
	;; [unrolled: 1-line block ×7, first 2 shown]
	ds_store_b64 v6, v[138:139] offset:128
.LBB0_13:
	s_wait_alu 0xfffe
	s_or_b32 exec_lo, exec_lo, s0
	v_add_nc_u32_e32 v156, 0xc00, v239
	v_add_nc_u32_e32 v153, 0x2000, v239
	global_wb scope:SCOPE_SE
	s_wait_dscnt 0x0
	s_barrier_signal -1
	s_barrier_wait -1
	global_inv scope:SCOPE_SE
	ds_load_2addr_b64 v[128:131], v156 offset0:126 offset1:177
	ds_load_2addr_b64 v[144:147], v239 offset1:51
	ds_load_2addr_b64 v[160:163], v153 offset0:98 offset1:149
	v_add_nc_u32_e32 v155, 0x1000, v239
	v_add_nc_u32_e32 v157, 0x2800, v239
	v_add_nc_u32_e32 v154, 0x1800, v239
	ds_load_2addr_b64 v[136:139], v239 offset0:102 offset1:153
	ds_load_2addr_b64 v[132:135], v239 offset0:204 offset1:255
	v_add_nc_u32_e32 v159, 0x800, v239
	ds_load_2addr_b64 v[164:167], v155 offset0:100 offset1:151
	ds_load_2addr_b64 v[168:171], v153 offset0:200 offset1:251
	;; [unrolled: 1-line block ×8, first 2 shown]
	s_clause 0x1
	scratch_load_b128 v[2:5], off, off offset:136 th:TH_LOAD_LU
	scratch_load_b128 v[12:15], off, off offset:120 th:TH_LOAD_LU
	v_add_nc_u32_e32 v152, 0x2c00, v239
	s_mov_b32 s2, 0x87d568ce
	s_mov_b32 s3, 0x3f437851
	scratch_load_b128 v[20:23], off, off offset:204 th:TH_LOAD_LU ; 16-byte Folded Reload
	s_wait_loadcnt_dscnt 0x20c
	v_mul_f32_e32 v0, v3, v130
	v_mul_f32_e32 v7, v3, v131
	s_wait_loadcnt_dscnt 0x10a
	v_mul_f32_e32 v10, v15, v163
	v_mul_f32_e32 v8, v5, v161
	;; [unrolled: 1-line block ×3, first 2 shown]
	v_fma_f32 v9, v2, v131, -v0
	v_mul_f32_e32 v0, v15, v162
	s_wait_dscnt 0x7
	v_dual_fmac_f32 v7, v2, v130 :: v_dual_mul_f32 v130, v13, v165
	v_dual_mul_f32 v5, v13, v164 :: v_dual_fmac_f32 v10, v14, v162
	s_delay_alu instid0(VALU_DEP_3)
	v_fma_f32 v131, v14, v163, -v0
	scratch_load_b128 v[13:16], off, off offset:152 th:TH_LOAD_LU ; 16-byte Folded Reload
	v_add_nc_u32_e32 v158, 0x1c00, v239
	v_fmac_f32_e32 v8, v4, v160
	v_fma_f32 v11, v4, v161, -v1
	v_fma_f32 v161, v12, v165, -v5
	ds_load_2addr_b64 v[192:195], v152 offset0:122 offset1:173
	ds_load_b64 v[5:6], v239 offset:13056
	ds_load_2addr_b64 v[140:143], v159 offset0:152 offset1:203
	s_wait_loadcnt_dscnt 0x9
	v_mul_f32_e32 v163, v16, v168
	v_mul_f32_e32 v162, v16, v169
	scratch_load_b128 v[16:19], off, off offset:168 th:TH_LOAD_LU ; 16-byte Folded Reload
	v_mul_f32_e32 v0, v14, v166
	v_fmac_f32_e32 v130, v12, v164
	ds_load_2addr_b64 v[1:4], v158 offset0:124 offset1:175
	s_wait_dscnt 0x8
	v_mul_f32_e32 v12, v23, v176
	v_fma_f32 v164, v13, v167, -v0
	s_wait_loadcnt 0x0
	v_dual_mul_f32 v165, v17, v173 :: v_dual_mul_f32 v160, v14, v167
	v_mul_f32_e32 v0, v17, v172
	v_mul_f32_e32 v167, v21, v175
	s_delay_alu instid0(VALU_DEP_3)
	v_dual_fmac_f32 v165, v16, v172 :: v_dual_fmac_f32 v160, v13, v166
	v_fma_f32 v13, v15, v169, -v163
	v_mul_f32_e32 v163, v19, v171
	v_fma_f32 v166, v16, v173, -v0
	v_mul_f32_e32 v0, v21, v174
	s_wait_dscnt 0x7
	v_mul_f32_e32 v173, v29, v183
	v_fmac_f32_e32 v167, v20, v174
	v_dual_fmac_f32 v163, v18, v170 :: v_dual_fmac_f32 v162, v15, v168
	v_mul_f32_e32 v15, v19, v170
	v_fma_f32 v170, v22, v177, -v12
	s_wait_dscnt 0x5
	v_dual_mul_f32 v174, v31, v185 :: v_dual_fmac_f32 v173, v28, v182
	s_delay_alu instid0(VALU_DEP_3)
	v_fma_f32 v21, v18, v171, -v15
	scratch_load_b128 v[14:17], off, off offset:184 th:TH_LOAD_LU ; 16-byte Folded Reload
	v_mul_f32_e32 v168, v23, v177
	v_mul_f32_e32 v177, v27, v187
	global_wb scope:SCOPE_SE
	s_wait_loadcnt_dscnt 0x0
	s_barrier_signal -1
	s_barrier_wait -1
	global_inv scope:SCOPE_SE
	v_fmac_f32_e32 v177, v26, v186
	v_sub_f32_e32 v19, v166, v21
	v_mul_f32_e32 v171, v17, v179
	v_dual_mul_f32 v169, v15, v181 :: v_dual_mul_f32 v12, v17, v178
	v_dual_fmac_f32 v168, v22, v176 :: v_dual_sub_f32 v17, v160, v162
	s_delay_alu instid0(VALU_DEP_3) | instskip(NEXT) | instid1(VALU_DEP_3)
	v_fmac_f32_e32 v171, v16, v178
	v_fmac_f32_e32 v169, v14, v180
	v_fma_f32 v23, v20, v175, -v0
	v_dual_mul_f32 v0, v15, v180 :: v_dual_mul_f32 v175, v25, v189
	v_mul_f32_e32 v180, v39, v193
	v_sub_f32_e32 v15, v164, v13
	s_delay_alu instid0(VALU_DEP_3) | instskip(NEXT) | instid1(VALU_DEP_4)
	v_fma_f32 v172, v14, v181, -v0
	v_dual_mul_f32 v0, v29, v182 :: v_dual_fmac_f32 v175, v24, v188
	v_fma_f32 v29, v16, v179, -v12
	v_mul_f32_e32 v12, v31, v184
	v_mul_f32_e32 v182, v33, v2
	s_delay_alu instid0(VALU_DEP_4)
	v_fma_f32 v31, v28, v183, -v0
	v_mul_f32_e32 v0, v25, v188
	v_mul_f32_e32 v179, v37, v191
	v_fma_f32 v176, v30, v185, -v12
	v_mul_f32_e32 v12, v27, v186
	v_fmac_f32_e32 v182, v32, v1
	v_fma_f32 v178, v24, v189, -v0
	v_mul_f32_e32 v0, v37, v190
	v_dual_fmac_f32 v174, v30, v184 :: v_dual_fmac_f32 v179, v36, v190
	v_fma_f32 v37, v26, v187, -v12
	v_mul_f32_e32 v186, v41, v4
	s_delay_alu instid0(VALU_DEP_4) | instskip(SKIP_4) | instid1(VALU_DEP_4)
	v_fma_f32 v181, v36, v191, -v0
	v_dual_mul_f32 v0, v33, v1 :: v_dual_mul_f32 v1, v35, v194
	v_mul_f32_e32 v188, v43, v6
	v_mul_f32_e32 v12, v39, v192
	v_fmac_f32_e32 v186, v40, v3
	v_fma_f32 v185, v32, v2, -v0
	v_mul_f32_e32 v0, v41, v3
	v_fma_f32 v187, v34, v195, -v1
	v_mul_f32_e32 v1, v43, v5
	v_fmac_f32_e32 v188, v42, v5
	v_add_f32_e32 v2, v144, v7
	v_fma_f32 v189, v40, v4, -v0
	v_add_f32_e32 v0, v7, v8
	v_fma_f32 v190, v42, v6, -v1
	v_add_f32_e32 v1, v9, v11
	v_sub_f32_e32 v3, v9, v11
	v_add_f32_e32 v5, v145, v9
	v_fma_f32 v0, -0.5, v0, v144
	v_sub_f32_e32 v6, v7, v8
	v_fma_f32 v1, -0.5, v1, v145
	v_dual_mul_f32 v184, v35, v195 :: v_dual_add_f32 v7, v130, v10
	v_fmac_f32_e32 v180, v38, v192
	v_add_f32_e32 v2, v2, v8
	v_dual_add_f32 v8, v146, v130 :: v_dual_add_f32 v9, v161, v131
	s_delay_alu instid0(VALU_DEP_4)
	v_fma_f32 v146, -0.5, v7, v146
	v_sub_f32_e32 v7, v161, v131
	v_add_f32_e32 v16, v137, v164
	v_fmamk_f32 v4, v3, 0xbf5db3d7, v0
	v_fmac_f32_e32 v0, 0x3f5db3d7, v3
	v_add_f32_e32 v3, v5, v11
	v_fmamk_f32 v5, v6, 0x3f5db3d7, v1
	v_fmac_f32_e32 v1, 0xbf5db3d7, v6
	v_dual_fmac_f32 v184, v34, v194 :: v_dual_add_f32 v11, v147, v161
	v_add_f32_e32 v30, v172, v29
	v_dual_add_f32 v6, v8, v10 :: v_dual_fmac_f32 v147, -0.5, v9
	v_sub_f32_e32 v10, v130, v10
	v_dual_add_f32 v14, v164, v13 :: v_dual_sub_f32 v25, v23, v170
	v_sub_f32_e32 v22, v165, v163
	v_add_f32_e32 v32, v135, v172
	v_add_f32_e32 v20, v139, v166
	v_dual_fmamk_f32 v8, v7, 0xbf5db3d7, v146 :: v_dual_fmac_f32 v135, -0.5, v30
	v_fmac_f32_e32 v146, 0x3f5db3d7, v7
	v_add_f32_e32 v7, v11, v131
	v_add_f32_e32 v11, v160, v162
	v_fmamk_f32 v9, v10, 0x3f5db3d7, v147
	v_dual_fmac_f32 v147, 0xbf5db3d7, v10 :: v_dual_sub_f32 v26, v167, v168
	v_add_f32_e32 v39, v150, v175
	s_delay_alu instid0(VALU_DEP_4) | instskip(SKIP_3) | instid1(VALU_DEP_4)
	v_fma_f32 v10, -0.5, v11, v136
	v_fma_f32 v11, -0.5, v14, v137
	v_add_f32_e32 v18, v138, v165
	v_dual_add_f32 v24, v23, v170 :: v_dual_add_f32 v27, v169, v171
	v_fmamk_f32 v14, v15, 0xbf5db3d7, v10
	s_delay_alu instid0(VALU_DEP_4)
	v_dual_fmac_f32 v10, 0x3f5db3d7, v15 :: v_dual_fmamk_f32 v15, v17, 0x3f5db3d7, v11
	v_fmac_f32_e32 v11, 0xbf5db3d7, v17
	v_add_f32_e32 v17, v166, v21
	v_dual_add_f32 v40, v178, v37 :: v_dual_sub_f32 v137, v185, v187
	v_sub_f32_e32 v30, v169, v171
	v_fma_f32 v183, v38, v193, -v12
	s_delay_alu instid0(VALU_DEP_4)
	v_fmac_f32_e32 v139, -0.5, v17
	v_add_f32_e32 v17, v20, v21
	v_add_f32_e32 v21, v132, v167
	v_dual_add_f32 v13, v16, v13 :: v_dual_add_f32 v16, v165, v163
	v_add_f32_e32 v20, v167, v168
	v_add_f32_e32 v12, v136, v160
	;; [unrolled: 1-line block ×4, first 2 shown]
	v_fma_f32 v138, -0.5, v16, v138
	v_add_f32_e32 v16, v18, v163
	v_fma_f32 v20, -0.5, v20, v132
	v_add_f32_e32 v132, v141, v181
	v_sub_f32_e32 v36, v173, v174
	v_fmamk_f32 v18, v19, 0xbf5db3d7, v138
	v_dual_fmac_f32 v138, 0x3f5db3d7, v19 :: v_dual_fmamk_f32 v19, v22, 0x3f5db3d7, v139
	v_dual_fmac_f32 v139, 0xbf5db3d7, v22 :: v_dual_add_f32 v22, v21, v168
	v_fma_f32 v21, -0.5, v24, v133
	v_add_f32_e32 v28, v134, v169
	v_fma_f32 v134, -0.5, v27, v134
	v_dual_sub_f32 v27, v172, v29 :: v_dual_fmamk_f32 v24, v25, 0xbf5db3d7, v20
	v_dual_sub_f32 v35, v31, v176 :: v_dual_fmac_f32 v20, 0x3f5db3d7, v25
	v_fmamk_f32 v25, v26, 0x3f5db3d7, v21
	v_dual_fmac_f32 v21, 0xbf5db3d7, v26 :: v_dual_add_f32 v26, v28, v171
	s_delay_alu instid0(VALU_DEP_4)
	v_dual_sub_f32 v41, v178, v37 :: v_dual_fmamk_f32 v28, v27, 0xbf5db3d7, v134
	v_dual_fmac_f32 v134, 0x3f5db3d7, v27 :: v_dual_add_f32 v27, v32, v29
	v_add_f32_e32 v32, v173, v174
	v_dual_add_f32 v34, v31, v176 :: v_dual_add_f32 v43, v181, v183
	v_fma_f32 v150, -0.5, v38, v150
	v_fmamk_f32 v29, v30, 0x3f5db3d7, v135
	v_fmac_f32_e32 v135, 0xbf5db3d7, v30
	v_dual_add_f32 v12, v12, v162 :: v_dual_add_f32 v23, v133, v23
	s_delay_alu instid0(VALU_DEP_4)
	v_fmamk_f32 v38, v41, 0xbf5db3d7, v150
	v_dual_fmac_f32 v150, 0x3f5db3d7, v41 :: v_dual_add_f32 v41, v179, v180
	v_fma_f32 v30, -0.5, v32, v148
	v_dual_add_f32 v32, v33, v174 :: v_dual_sub_f32 v133, v179, v180
	v_add_f32_e32 v33, v149, v31
	v_fma_f32 v31, -0.5, v34, v149
	s_delay_alu instid0(VALU_DEP_4) | instskip(SKIP_1) | instid1(VALU_DEP_3)
	v_dual_fmamk_f32 v34, v35, 0xbf5db3d7, v30 :: v_dual_sub_f32 v131, v181, v183
	v_dual_fmac_f32 v30, 0x3f5db3d7, v35 :: v_dual_sub_f32 v149, v186, v188
	v_fmamk_f32 v35, v36, 0x3f5db3d7, v31
	v_dual_fmac_f32 v31, 0xbf5db3d7, v36 :: v_dual_add_f32 v36, v39, v177
	v_add_f32_e32 v39, v151, v178
	v_dual_fmac_f32 v151, -0.5, v40 :: v_dual_sub_f32 v40, v175, v177
	v_add_f32_e32 v136, v142, v182
	v_add_f32_e32 v148, v129, v189
	s_delay_alu instid0(VALU_DEP_4)
	v_add_f32_e32 v37, v39, v37
	v_add_f32_e32 v23, v23, v170
	v_fmamk_f32 v39, v40, 0x3f5db3d7, v151
	v_fmac_f32_e32 v151, 0xbf5db3d7, v40
	v_fma_f32 v40, -0.5, v41, v140
	v_fma_f32 v41, -0.5, v43, v141
	v_dual_add_f32 v43, v132, v183 :: v_dual_add_f32 v132, v182, v184
	s_delay_alu instid0(VALU_DEP_3) | instskip(SKIP_1) | instid1(VALU_DEP_4)
	v_dual_sub_f32 v141, v182, v184 :: v_dual_fmamk_f32 v130, v131, 0xbf5db3d7, v40
	v_dual_fmac_f32 v40, 0x3f5db3d7, v131 :: v_dual_sub_f32 v145, v189, v190
	v_fmamk_f32 v131, v133, 0x3f5db3d7, v41
	v_fmac_f32_e32 v41, 0xbf5db3d7, v133
	v_add_f32_e32 v133, v185, v187
	v_add_f32_e32 v42, v140, v179
	v_fma_f32 v142, -0.5, v132, v142
	v_add_f32_e32 v140, v143, v185
	s_delay_alu instid0(VALU_DEP_4) | instskip(NEXT) | instid1(VALU_DEP_4)
	v_dual_add_f32 v132, v136, v184 :: v_dual_fmac_f32 v143, -0.5, v133
	v_add_f32_e32 v42, v42, v180
	s_delay_alu instid0(VALU_DEP_4) | instskip(SKIP_1) | instid1(VALU_DEP_4)
	v_fmamk_f32 v136, v137, 0xbf5db3d7, v142
	v_dual_fmac_f32 v142, 0x3f5db3d7, v137 :: v_dual_add_f32 v33, v33, v176
	v_fmamk_f32 v137, v141, 0x3f5db3d7, v143
	v_fmac_f32_e32 v143, 0xbf5db3d7, v141
	v_add_f32_e32 v141, v189, v190
	s_delay_alu instid0(VALU_DEP_1)
	v_dual_add_f32 v144, v128, v186 :: v_dual_fmac_f32 v129, -0.5, v141
	v_add_f32_e32 v141, v148, v190
	scratch_load_b32 v148, off, off offset:200 th:TH_LOAD_LU ; 4-byte Folded Reload
	v_dual_add_f32 v133, v140, v187 :: v_dual_add_f32 v140, v186, v188
	s_wait_loadcnt 0x0
	ds_store_2addr_b64 v148, v[2:3], v[4:5] offset1:17
	ds_store_b64 v148, v[0:1] offset:272
	scratch_load_b32 v0, off, off offset:220 th:TH_LOAD_LU ; 4-byte Folded Reload
	v_fma_f32 v128, -0.5, v140, v128
	v_add_f32_e32 v140, v144, v188
	s_wait_loadcnt 0x0
	ds_store_2addr_b64 v0, v[6:7], v[8:9] offset1:17
	ds_store_b64 v0, v[146:147] offset:272
	scratch_load_b32 v0, off, off offset:224 th:TH_LOAD_LU ; 4-byte Folded Reload
	v_fmamk_f32 v144, v145, 0xbf5db3d7, v128
	v_dual_fmac_f32 v128, 0x3f5db3d7, v145 :: v_dual_fmamk_f32 v145, v149, 0x3f5db3d7, v129
	v_fmac_f32_e32 v129, 0xbf5db3d7, v149
	s_wait_loadcnt 0x0
	ds_store_2addr_b64 v0, v[12:13], v[14:15] offset1:17
	ds_store_b64 v0, v[10:11] offset:272
	scratch_load_b32 v0, off, off offset:228 th:TH_LOAD_LU ; 4-byte Folded Reload
	s_wait_loadcnt 0x0
	ds_store_2addr_b64 v0, v[16:17], v[18:19] offset1:17
	ds_store_b64 v0, v[138:139] offset:272
	scratch_load_b32 v0, off, off offset:232 th:TH_LOAD_LU ; 4-byte Folded Reload
	;; [unrolled: 4-line block ×8, first 2 shown]
	s_wait_loadcnt 0x0
	ds_store_2addr_b64 v0, v[140:141], v[144:145] offset1:17
	ds_store_b64 v0, v[128:129] offset:272
	global_wb scope:SCOPE_SE
	s_wait_dscnt 0x0
	s_barrier_signal -1
	s_barrier_wait -1
	global_inv scope:SCOPE_SE
	ds_load_2addr_b64 v[0:3], v239 offset0:102 offset1:153
	ds_load_2addr_b64 v[11:14], v159 offset0:50 offset1:101
	ds_load_2addr_b64 v[4:7], v239 offset1:51
	ds_load_2addr_b64 v[15:18], v159 offset0:152 offset1:203
	ds_load_2addr_b64 v[19:22], v155 offset0:100 offset1:151
	;; [unrolled: 1-line block ×13, first 2 shown]
	ds_load_b64 v[168:169], v239 offset:13056
	global_wb scope:SCOPE_SE
	s_wait_dscnt 0x0
	s_barrier_signal -1
	s_barrier_wait -1
	v_mul_f32_e32 v170, v45, v3
	v_dual_mul_f32 v8, v45, v2 :: v_dual_mul_f32 v9, v47, v11
	v_dual_mul_f32 v172, v49, v18 :: v_dual_mul_f32 v171, v47, v12
	s_delay_alu instid0(VALU_DEP_3) | instskip(NEXT) | instid1(VALU_DEP_3)
	v_fmac_f32_e32 v170, v44, v2
	v_fma_f32 v2, v44, v3, -v8
	v_mul_f32_e32 v3, v49, v17
	v_fma_f32 v173, v46, v12, -v9
	v_mul_f32_e32 v12, v51, v20
	v_dual_fmac_f32 v172, v48, v17 :: v_dual_mul_f32 v9, v51, v19
	s_delay_alu instid0(VALU_DEP_4)
	v_fma_f32 v17, v48, v18, -v3
	v_mul_f32_e32 v3, v57, v26
	v_fmac_f32_e32 v171, v46, v11
	v_mul_f32_e32 v11, v59, v36
	v_fma_f32 v18, v50, v20, -v9
	v_mul_f32_e32 v9, v59, v37
	v_fma_f32 v10, v56, v27, -v3
	v_dual_mul_f32 v3, v53, v130 :: v_dual_fmac_f32 v12, v50, v19
	v_mul_f32_e32 v23, v69, v134
	v_mul_f32_e32 v19, v53, v131
	v_dual_mul_f32 v8, v57, v27 :: v_dual_mul_f32 v27, v47, v13
	v_fma_f32 v11, v58, v37, -v11
	v_fmac_f32_e32 v9, v58, v36
	s_delay_alu instid0(VALU_DEP_4) | instskip(SKIP_4) | instid1(VALU_DEP_3)
	v_fmac_f32_e32 v19, v52, v130
	v_fma_f32 v130, v52, v131, -v3
	v_dual_mul_f32 v131, v69, v135 :: v_dual_mul_f32 v20, v55, v41
	v_dual_mul_f32 v3, v55, v40 :: v_dual_mul_f32 v36, v49, v145
	v_mul_f32_e32 v32, v51, v22
	v_dual_fmac_f32 v131, v68, v134 :: v_dual_fmac_f32 v20, v54, v40
	v_mul_f32_e32 v40, v47, v14
	s_delay_alu instid0(VALU_DEP_4)
	v_fma_f32 v175, v54, v41, -v3
	v_fma_f32 v41, v46, v14, -v27
	v_mul_f32_e32 v27, v71, v139
	v_mul_f32_e32 v14, v51, v21
	v_dual_fmac_f32 v40, v46, v13 :: v_dual_mul_f32 v13, v49, v144
	v_fmac_f32_e32 v8, v56, v26
	s_delay_alu instid0(VALU_DEP_4) | instskip(NEXT) | instid1(VALU_DEP_4)
	v_fmac_f32_e32 v27, v70, v138
	v_fma_f32 v33, v50, v22, -v14
	v_mul_f32_e32 v14, v59, v38
	v_fma_f32 v37, v48, v145, -v13
	v_mul_f32_e32 v13, v57, v148
	v_mul_f32_e32 v3, v71, v136
	v_fma_f32 v134, v68, v135, -v23
	v_mul_f32_e32 v23, v45, v141
	;; [unrolled: 3-line block ×3, first 2 shown]
	v_fma_f32 v31, v58, v39, -v14
	v_fmac_f32_e32 v23, v44, v140
	v_mul_f32_e32 v14, v69, v164
	v_dual_fmac_f32 v174, v70, v136 :: v_dual_mul_f32 v29, v59, v39
	v_fma_f32 v35, v52, v161, -v13
	v_dual_mul_f32 v13, v55, v42 :: v_dual_fmac_f32 v36, v48, v144
	s_delay_alu instid0(VALU_DEP_3)
	v_dual_mul_f32 v26, v45, v140 :: v_dual_fmac_f32 v29, v58, v38
	v_fma_f32 v3, v70, v137, -v3
	v_fma_f32 v45, v68, v165, -v14
	v_mul_f32_e32 v14, v65, v142
	v_mul_f32_e32 v38, v55, v43
	v_fma_f32 v39, v54, v43, -v13
	v_dual_mul_f32 v28, v57, v149 :: v_dual_mul_f32 v13, v71, v138
	s_delay_alu instid0(VALU_DEP_4) | instskip(SKIP_2) | instid1(VALU_DEP_4)
	v_fma_f32 v43, v64, v143, -v14
	v_mul_f32_e32 v14, v79, v24
	v_mul_f32_e32 v34, v53, v161
	v_fmac_f32_e32 v28, v56, v148
	v_dual_fmac_f32 v38, v54, v42 :: v_dual_mul_f32 v49, v63, v129
	s_delay_alu instid0(VALU_DEP_4)
	v_fma_f32 v53, v78, v25, -v14
	v_add_f32_e32 v14, v4, v170
	v_fma_f32 v46, v70, v139, -v13
	v_mul_f32_e32 v13, v67, v15
	v_fma_f32 v26, v44, v141, -v26
	v_dual_mul_f32 v44, v69, v165 :: v_dual_fmac_f32 v49, v62, v128
	v_add_f32_e32 v14, v14, v171
	v_mul_f32_e32 v42, v65, v143
	v_dual_fmac_f32 v32, v50, v21 :: v_dual_mul_f32 v65, v67, v16
	s_delay_alu instid0(VALU_DEP_4) | instskip(SKIP_1) | instid1(VALU_DEP_4)
	v_fmac_f32_e32 v44, v68, v164
	v_dual_mul_f32 v56, v77, v147 :: v_dual_add_f32 v21, v170, v174
	v_fmac_f32_e32 v42, v64, v142
	v_fma_f32 v64, v66, v16, -v13
	v_mul_f32_e32 v13, v77, v146
	v_fmac_f32_e32 v65, v66, v15
	v_add_f32_e32 v15, v5, v2
	global_inv scope:SCOPE_SE
	v_fma_f32 v57, v76, v147, -v13
	v_mul_f32_e32 v13, v61, v150
	v_add_f32_e32 v15, v15, v173
	s_delay_alu instid0(VALU_DEP_2) | instskip(SKIP_3) | instid1(VALU_DEP_3)
	v_fma_f32 v50, v60, v151, -v13
	v_mul_f32_e32 v13, v63, v128
	v_fmac_f32_e32 v34, v52, v160
	v_dual_mul_f32 v52, v79, v25 :: v_dual_sub_f32 v79, v173, v134
	v_fma_f32 v51, v62, v129, -v13
	v_dual_add_f32 v13, v14, v172 :: v_dual_add_f32 v14, v15, v17
	v_mul_f32_e32 v15, v81, v162
	s_delay_alu instid0(VALU_DEP_2) | instskip(SKIP_1) | instid1(VALU_DEP_3)
	v_dual_add_f32 v13, v13, v12 :: v_dual_add_f32 v14, v14, v18
	v_fmac_f32_e32 v56, v76, v146
	v_fma_f32 v55, v80, v163, -v15
	v_mul_f32_e32 v15, v73, v166
	s_delay_alu instid0(VALU_DEP_4) | instskip(SKIP_1) | instid1(VALU_DEP_2)
	v_dual_add_f32 v13, v13, v8 :: v_dual_add_f32 v14, v14, v10
	v_fmac_f32_e32 v52, v78, v24
	v_dual_add_f32 v24, v2, v3 :: v_dual_add_f32 v13, v13, v9
	s_delay_alu instid0(VALU_DEP_1) | instskip(SKIP_1) | instid1(VALU_DEP_2)
	v_dual_add_f32 v14, v14, v11 :: v_dual_mul_f32 v71, 0xbe11bafb, v24
	v_mul_f32_e32 v47, 0x3f575c64, v24
	v_dual_add_f32 v13, v13, v19 :: v_dual_add_f32 v14, v14, v130
	s_delay_alu instid0(VALU_DEP_1) | instskip(SKIP_3) | instid1(VALU_DEP_4)
	v_dual_add_f32 v13, v13, v20 :: v_dual_add_f32 v14, v14, v175
	v_mul_f32_e32 v48, v61, v151
	v_fma_f32 v61, v72, v167, -v15
	v_sub_f32_e32 v15, v2, v3
	v_add_f32_e32 v2, v13, v131
	s_delay_alu instid0(VALU_DEP_2) | instskip(SKIP_1) | instid1(VALU_DEP_2)
	v_mul_f32_e32 v69, 0xbf7d64f0, v15
	v_mul_f32_e32 v22, 0xbf0a6770, v15
	v_fmamk_f32 v70, v21, 0xbe11bafb, v69
	v_fma_f32 v69, 0xbe11bafb, v21, -v69
	s_delay_alu instid0(VALU_DEP_3)
	v_fmamk_f32 v25, v21, 0x3f575c64, v22
	v_mul_f32_e32 v54, v81, v163
	v_fma_f32 v22, 0x3f575c64, v21, -v22
	v_add_f32_e32 v81, v173, v134
	v_add_f32_e32 v69, v4, v69
	v_dual_add_f32 v13, v14, v134 :: v_dual_mul_f32 v58, v83, v133
	v_fmac_f32_e32 v48, v60, v150
	v_mul_f32_e32 v60, v73, v167
	s_delay_alu instid0(VALU_DEP_3) | instskip(SKIP_2) | instid1(VALU_DEP_3)
	v_dual_sub_f32 v14, v170, v174 :: v_dual_add_f32 v3, v13, v3
	v_add_f32_e32 v13, v4, v25
	v_dual_fmac_f32 v54, v80, v162 :: v_dual_mul_f32 v25, 0xbf68dda4, v15
	v_dual_fmac_f32 v60, v72, v166 :: v_dual_fmamk_f32 v73, v14, 0x3f7d64f0, v71
	v_dual_fmac_f32 v71, 0xbf7d64f0, v14 :: v_dual_add_f32 v80, v171, v131
	s_delay_alu instid0(VALU_DEP_3) | instskip(SKIP_1) | instid1(VALU_DEP_3)
	v_dual_fmamk_f32 v67, v21, 0x3ed4b147, v25 :: v_dual_mul_f32 v62, v75, v169
	v_fma_f32 v25, 0x3ed4b147, v21, -v25
	v_dual_add_f32 v71, v5, v71 :: v_dual_mul_f32 v16, v83, v132
	s_delay_alu instid0(VALU_DEP_3) | instskip(SKIP_1) | instid1(VALU_DEP_4)
	v_dual_add_f32 v67, v4, v67 :: v_dual_fmac_f32 v62, v74, v168
	v_add_f32_e32 v73, v5, v73
	v_add_f32_e32 v25, v4, v25
	s_delay_alu instid0(VALU_DEP_4) | instskip(SKIP_4) | instid1(VALU_DEP_4)
	v_fma_f32 v59, v82, v133, -v16
	v_mul_f32_e32 v16, v75, v168
	v_mul_f32_e32 v75, 0xbf27a4f4, v24
	;; [unrolled: 1-line block ×3, first 2 shown]
	v_dual_mul_f32 v15, 0xbe903f40, v15 :: v_dual_add_f32 v22, v4, v22
	v_fma_f32 v63, v74, v169, -v16
	v_fmamk_f32 v16, v14, 0x3f0a6770, v47
	v_fmamk_f32 v76, v14, 0x3f4178ce, v75
	v_fmac_f32_e32 v75, 0xbf4178ce, v14
	v_mul_f32_e32 v66, 0x3ed4b147, v24
	v_mul_f32_e32 v24, 0xbf75a155, v24
	v_dual_add_f32 v16, v5, v16 :: v_dual_fmac_f32 v47, 0xbf0a6770, v14
	v_fmac_f32_e32 v58, v82, v132
	v_fmamk_f32 v74, v21, 0xbf27a4f4, v72
	v_fma_f32 v72, 0xbf27a4f4, v21, -v72
	v_fmamk_f32 v77, v21, 0xbf75a155, v15
	v_fmamk_f32 v78, v14, 0x3e903f40, v24
	v_mul_f32_e32 v82, 0xbf68dda4, v79
	v_fma_f32 v15, 0xbf75a155, v21, -v15
	v_fmac_f32_e32 v24, 0xbe903f40, v14
	v_mul_f32_e32 v21, 0x3ed4b147, v81
	v_fmamk_f32 v68, v14, 0x3f68dda4, v66
	v_fmamk_f32 v83, v80, 0x3ed4b147, v82
	v_fmac_f32_e32 v66, 0xbf68dda4, v14
	v_sub_f32_e32 v14, v171, v131
	v_add_f32_e32 v47, v5, v47
	v_add_f32_e32 v68, v5, v68
	v_add_f32_e32 v74, v4, v74
	v_add_f32_e32 v76, v5, v76
	v_dual_add_f32 v72, v4, v72 :: v_dual_add_f32 v75, v5, v75
	v_dual_add_f32 v77, v4, v77 :: v_dual_add_f32 v2, v2, v174
	;; [unrolled: 1-line block ×3, first 2 shown]
	v_add_f32_e32 v66, v5, v66
	v_dual_add_f32 v5, v5, v24 :: v_dual_fmamk_f32 v24, v14, 0x3f68dda4, v21
	v_fmac_f32_e32 v21, 0xbf68dda4, v14
	v_add_f32_e32 v70, v4, v70
	v_add_f32_e32 v4, v4, v15
	s_delay_alu instid0(VALU_DEP_4) | instskip(NEXT) | instid1(VALU_DEP_4)
	v_dual_mul_f32 v15, 0xbf4178ce, v79 :: v_dual_add_f32 v16, v24, v16
	v_dual_add_f32 v21, v21, v47 :: v_dual_mul_f32 v24, 0xbf27a4f4, v81
	v_add_f32_e32 v131, v40, v44
	s_delay_alu instid0(VALU_DEP_3) | instskip(SKIP_1) | instid1(VALU_DEP_2)
	v_fmamk_f32 v83, v80, 0xbf27a4f4, v15
	v_fma_f32 v15, 0xbf27a4f4, v80, -v15
	v_add_f32_e32 v47, v83, v67
	v_mul_f32_e32 v67, 0x3e903f40, v79
	v_mul_f32_e32 v83, 0xbf75a155, v81
	s_delay_alu instid0(VALU_DEP_2) | instskip(SKIP_1) | instid1(VALU_DEP_3)
	v_dual_add_f32 v15, v15, v25 :: v_dual_fmamk_f32 v128, v80, 0xbf75a155, v67
	v_fma_f32 v67, 0xbf75a155, v80, -v67
	v_fmamk_f32 v25, v14, 0xbe903f40, v83
	v_fmac_f32_e32 v83, 0x3e903f40, v14
	s_delay_alu instid0(VALU_DEP_3) | instskip(SKIP_1) | instid1(VALU_DEP_4)
	v_add_f32_e32 v67, v67, v69
	v_fma_f32 v82, 0x3ed4b147, v80, -v82
	v_add_f32_e32 v25, v25, v73
	v_mul_f32_e32 v73, 0xbe11bafb, v81
	v_add_f32_e32 v69, v83, v71
	s_delay_alu instid0(VALU_DEP_4) | instskip(SKIP_2) | instid1(VALU_DEP_1)
	v_dual_mul_f32 v71, 0x3f0a6770, v79 :: v_dual_add_f32 v22, v82, v22
	v_fmamk_f32 v82, v14, 0x3f4178ce, v24
	v_fmac_f32_e32 v24, 0xbf4178ce, v14
	v_add_f32_e32 v24, v24, v66
	v_add_f32_e32 v66, v128, v70
	v_mul_f32_e32 v70, 0x3f7d64f0, v79
	v_fmamk_f32 v79, v14, 0xbf7d64f0, v73
	s_delay_alu instid0(VALU_DEP_1) | instskip(SKIP_1) | instid1(VALU_DEP_4)
	v_dual_add_f32 v76, v79, v76 :: v_dual_mul_f32 v79, 0x3f575c64, v81
	v_add_f32_e32 v68, v82, v68
	v_fmamk_f32 v82, v80, 0xbe11bafb, v70
	v_fma_f32 v70, 0xbe11bafb, v80, -v70
	s_delay_alu instid0(VALU_DEP_1) | instskip(NEXT) | instid1(VALU_DEP_1)
	v_dual_fmac_f32 v73, 0x3f7d64f0, v14 :: v_dual_add_f32 v70, v70, v72
	v_add_f32_e32 v72, v73, v75
	s_delay_alu instid0(VALU_DEP_4) | instskip(SKIP_2) | instid1(VALU_DEP_3)
	v_dual_sub_f32 v75, v17, v175 :: v_dual_add_f32 v74, v82, v74
	v_dual_fmamk_f32 v82, v80, 0x3f575c64, v71 :: v_dual_add_f32 v17, v17, v175
	v_fma_f32 v71, 0x3f575c64, v80, -v71
	v_dual_add_f32 v80, v172, v20 :: v_dual_mul_f32 v81, 0xbf7d64f0, v75
	s_delay_alu instid0(VALU_DEP_3) | instskip(SKIP_3) | instid1(VALU_DEP_3)
	v_add_f32_e32 v73, v82, v77
	v_fmamk_f32 v77, v14, 0xbf0a6770, v79
	v_dual_fmac_f32 v79, 0x3f0a6770, v14 :: v_dual_sub_f32 v14, v172, v20
	v_mul_f32_e32 v20, 0xbe11bafb, v17
	v_dual_add_f32 v4, v71, v4 :: v_dual_add_f32 v77, v77, v78
	s_delay_alu instid0(VALU_DEP_3) | instskip(SKIP_1) | instid1(VALU_DEP_4)
	v_add_f32_e32 v5, v79, v5
	v_mul_f32_e32 v79, 0x3e903f40, v75
	v_fmamk_f32 v71, v14, 0x3f7d64f0, v20
	v_fmac_f32_e32 v20, 0xbf7d64f0, v14
	v_mul_f32_e32 v82, 0x3ed4b147, v17
	s_delay_alu instid0(VALU_DEP_2) | instskip(SKIP_2) | instid1(VALU_DEP_2)
	v_dual_add_f32 v20, v20, v21 :: v_dual_mul_f32 v21, 0x3f68dda4, v75
	v_fmamk_f32 v78, v80, 0xbe11bafb, v81
	v_dual_add_f32 v16, v71, v16 :: v_dual_fmamk_f32 v71, v80, 0xbf75a155, v79
	v_add_f32_e32 v13, v78, v13
	v_fma_f32 v78, 0xbe11bafb, v80, -v81
	v_mul_f32_e32 v81, 0xbf75a155, v17
	s_delay_alu instid0(VALU_DEP_2) | instskip(SKIP_3) | instid1(VALU_DEP_2)
	v_dual_add_f32 v47, v71, v47 :: v_dual_add_f32 v22, v78, v22
	v_fma_f32 v78, 0xbf75a155, v80, -v79
	v_fmamk_f32 v79, v80, 0x3ed4b147, v21
	v_fma_f32 v21, 0x3ed4b147, v80, -v21
	v_dual_add_f32 v15, v78, v15 :: v_dual_add_f32 v66, v79, v66
	v_mul_f32_e32 v79, 0x3f575c64, v17
	v_fmamk_f32 v71, v14, 0xbe903f40, v81
	v_mul_f32_e32 v78, 0xbf0a6770, v75
	v_fmac_f32_e32 v81, 0x3e903f40, v14
	v_add_f32_e32 v21, v21, v67
	s_delay_alu instid0(VALU_DEP_4) | instskip(NEXT) | instid1(VALU_DEP_3)
	v_dual_mul_f32 v75, 0xbf4178ce, v75 :: v_dual_add_f32 v68, v71, v68
	v_dual_fmamk_f32 v71, v14, 0xbf68dda4, v82 :: v_dual_add_f32 v24, v81, v24
	v_mul_f32_e32 v17, 0xbf27a4f4, v17
	s_delay_alu instid0(VALU_DEP_2) | instskip(SKIP_1) | instid1(VALU_DEP_1)
	v_add_f32_e32 v25, v71, v25
	v_fmamk_f32 v71, v80, 0x3f575c64, v78
	v_add_f32_e32 v71, v71, v74
	v_fmac_f32_e32 v82, 0x3f68dda4, v14
	s_delay_alu instid0(VALU_DEP_1) | instskip(SKIP_3) | instid1(VALU_DEP_3)
	v_add_f32_e32 v67, v82, v69
	v_fmamk_f32 v69, v14, 0x3f0a6770, v79
	v_fmac_f32_e32 v79, 0xbf0a6770, v14
	v_fma_f32 v74, 0x3f575c64, v80, -v78
	v_dual_add_f32 v78, v12, v19 :: v_dual_add_f32 v69, v69, v76
	v_fmamk_f32 v76, v80, 0xbf27a4f4, v75
	v_fma_f32 v75, 0xbf27a4f4, v80, -v75
	s_delay_alu instid0(VALU_DEP_2) | instskip(SKIP_4) | instid1(VALU_DEP_4)
	v_dual_add_f32 v73, v76, v73 :: v_dual_fmamk_f32 v76, v14, 0x3f4178ce, v17
	v_fmac_f32_e32 v17, 0xbf4178ce, v14
	v_add_f32_e32 v70, v74, v70
	v_sub_f32_e32 v12, v12, v19
	v_sub_f32_e32 v74, v18, v130
	v_dual_add_f32 v18, v18, v130 :: v_dual_add_f32 v5, v17, v5
	v_add_f32_e32 v4, v75, v4
	v_sub_f32_e32 v130, v41, v45
	s_delay_alu instid0(VALU_DEP_3) | instskip(NEXT) | instid1(VALU_DEP_1)
	v_mul_f32_e32 v14, 0xbf27a4f4, v18
	v_dual_fmamk_f32 v17, v12, 0x3f4178ce, v14 :: v_dual_add_f32 v72, v79, v72
	v_mul_f32_e32 v79, 0xbf4178ce, v74
	s_delay_alu instid0(VALU_DEP_1) | instskip(SKIP_1) | instid1(VALU_DEP_2)
	v_fmamk_f32 v19, v78, 0xbf27a4f4, v79
	v_fma_f32 v75, 0xbf27a4f4, v78, -v79
	v_add_f32_e32 v13, v19, v13
	v_dual_add_f32 v76, v76, v77 :: v_dual_mul_f32 v19, 0x3f7d64f0, v74
	v_dual_add_f32 v16, v17, v16 :: v_dual_mul_f32 v17, 0xbe11bafb, v18
	s_delay_alu instid0(VALU_DEP_2) | instskip(SKIP_1) | instid1(VALU_DEP_3)
	v_dual_add_f32 v22, v75, v22 :: v_dual_fmamk_f32 v77, v78, 0xbe11bafb, v19
	v_fma_f32 v19, 0xbe11bafb, v78, -v19
	v_fmamk_f32 v75, v12, 0xbf7d64f0, v17
	v_fmac_f32_e32 v17, 0x3f7d64f0, v12
	s_delay_alu instid0(VALU_DEP_4) | instskip(NEXT) | instid1(VALU_DEP_4)
	v_dual_add_f32 v47, v77, v47 :: v_dual_fmac_f32 v14, 0xbf4178ce, v12
	v_add_f32_e32 v15, v19, v15
	s_delay_alu instid0(VALU_DEP_4) | instskip(NEXT) | instid1(VALU_DEP_4)
	v_dual_add_f32 v68, v75, v68 :: v_dual_mul_f32 v75, 0x3f575c64, v18
	v_add_f32_e32 v17, v17, v24
	s_delay_alu instid0(VALU_DEP_4) | instskip(SKIP_1) | instid1(VALU_DEP_1)
	v_add_f32_e32 v14, v14, v20
	v_mul_f32_e32 v20, 0xbf0a6770, v74
	v_fmamk_f32 v77, v78, 0x3f575c64, v20
	v_fma_f32 v20, 0x3f575c64, v78, -v20
	s_delay_alu instid0(VALU_DEP_2) | instskip(SKIP_1) | instid1(VALU_DEP_3)
	v_dual_add_f32 v19, v77, v66 :: v_dual_fmamk_f32 v66, v12, 0x3f0a6770, v75
	v_mul_f32_e32 v24, 0xbe903f40, v74
	v_dual_mul_f32 v77, 0xbf75a155, v18 :: v_dual_add_f32 v20, v20, v21
	s_delay_alu instid0(VALU_DEP_3) | instskip(NEXT) | instid1(VALU_DEP_3)
	v_dual_mul_f32 v18, 0x3ed4b147, v18 :: v_dual_add_f32 v25, v66, v25
	v_fmamk_f32 v79, v78, 0xbf75a155, v24
	v_fma_f32 v24, 0xbf75a155, v78, -v24
	v_fmac_f32_e32 v75, 0xbf0a6770, v12
	v_fmamk_f32 v21, v12, 0x3e903f40, v77
	s_delay_alu instid0(VALU_DEP_3) | instskip(NEXT) | instid1(VALU_DEP_3)
	v_dual_fmac_f32 v77, 0xbe903f40, v12 :: v_dual_add_f32 v24, v24, v70
	v_add_f32_e32 v66, v75, v67
	v_add_f32_e32 v67, v79, v71
	v_dual_mul_f32 v71, 0x3f68dda4, v74 :: v_dual_sub_f32 v70, v10, v11
	v_dual_add_f32 v21, v21, v69 :: v_dual_fmamk_f32 v74, v12, 0xbf68dda4, v18
	v_fmac_f32_e32 v18, 0x3f68dda4, v12
	s_delay_alu instid0(VALU_DEP_2) | instskip(SKIP_3) | instid1(VALU_DEP_3)
	v_dual_mul_f32 v75, 0xbe903f40, v70 :: v_dual_add_f32 v74, v74, v76
	v_add_f32_e32 v76, v10, v11
	v_dual_add_f32 v72, v77, v72 :: v_dual_fmamk_f32 v69, v78, 0x3ed4b147, v71
	v_fma_f32 v10, 0x3ed4b147, v78, -v71
	v_dual_sub_f32 v71, v8, v9 :: v_dual_mul_f32 v12, 0xbf75a155, v76
	v_add_f32_e32 v78, v18, v5
	s_delay_alu instid0(VALU_DEP_4) | instskip(SKIP_1) | instid1(VALU_DEP_4)
	v_dual_mul_f32 v18, 0x3f575c64, v76 :: v_dual_add_f32 v69, v69, v73
	v_add_f32_e32 v73, v8, v9
	v_dual_add_f32 v77, v10, v4 :: v_dual_fmamk_f32 v4, v71, 0x3e903f40, v12
	v_fmac_f32_e32 v12, 0xbe903f40, v71
	s_delay_alu instid0(VALU_DEP_3) | instskip(SKIP_1) | instid1(VALU_DEP_2)
	v_fmamk_f32 v11, v73, 0xbf75a155, v75
	v_fma_f32 v5, 0xbf75a155, v73, -v75
	v_dual_add_f32 v9, v4, v16 :: v_dual_add_f32 v8, v11, v13
	v_mul_f32_e32 v13, 0x3f0a6770, v70
	s_delay_alu instid0(VALU_DEP_3) | instskip(SKIP_2) | instid1(VALU_DEP_4)
	v_dual_add_f32 v4, v5, v22 :: v_dual_fmamk_f32 v11, v71, 0xbf0a6770, v18
	v_add_f32_e32 v5, v12, v14
	v_mul_f32_e32 v12, 0xbf4178ce, v70
	v_fmamk_f32 v10, v73, 0x3f575c64, v13
	v_fmac_f32_e32 v18, 0x3f0a6770, v71
	v_mul_f32_e32 v22, 0xbf27a4f4, v76
	s_delay_alu instid0(VALU_DEP_4) | instskip(NEXT) | instid1(VALU_DEP_4)
	v_dual_add_f32 v11, v11, v68 :: v_dual_fmamk_f32 v14, v73, 0xbf27a4f4, v12
	v_add_f32_e32 v10, v10, v47
	v_fma_f32 v13, 0x3f575c64, v73, -v13
	v_fma_f32 v68, 0xbf27a4f4, v73, -v12
	s_delay_alu instid0(VALU_DEP_4) | instskip(NEXT) | instid1(VALU_DEP_3)
	v_dual_add_f32 v16, v14, v19 :: v_dual_add_f32 v19, v7, v26
	v_dual_add_f32 v12, v13, v15 :: v_dual_add_f32 v13, v18, v17
	v_fmamk_f32 v47, v71, 0x3f4178ce, v22
	s_delay_alu instid0(VALU_DEP_3) | instskip(SKIP_1) | instid1(VALU_DEP_3)
	v_dual_fmac_f32 v22, 0xbf4178ce, v71 :: v_dual_add_f32 v19, v19, v41
	v_add_f32_e32 v14, v68, v20
	v_dual_mul_f32 v20, 0x3f68dda4, v70 :: v_dual_add_f32 v17, v47, v25
	v_mul_f32_e32 v25, 0x3ed4b147, v76
	s_delay_alu instid0(VALU_DEP_4) | instskip(NEXT) | instid1(VALU_DEP_3)
	v_dual_add_f32 v19, v19, v37 :: v_dual_add_f32 v18, v6, v23
	v_dual_add_f32 v15, v22, v66 :: v_dual_fmamk_f32 v22, v73, 0x3ed4b147, v20
	s_delay_alu instid0(VALU_DEP_3) | instskip(NEXT) | instid1(VALU_DEP_3)
	v_fmamk_f32 v47, v71, 0xbf68dda4, v25
	v_dual_add_f32 v19, v19, v33 :: v_dual_add_f32 v18, v18, v40
	v_fma_f32 v66, 0x3ed4b147, v73, -v20
	s_delay_alu instid0(VALU_DEP_3) | instskip(SKIP_1) | instid1(VALU_DEP_4)
	v_dual_add_f32 v20, v22, v67 :: v_dual_add_f32 v21, v47, v21
	v_mul_f32_e32 v47, 0xbe11bafb, v76
	v_dual_add_f32 v68, v18, v36 :: v_dual_fmac_f32 v25, 0x3f68dda4, v71
	s_delay_alu instid0(VALU_DEP_4) | instskip(SKIP_2) | instid1(VALU_DEP_4)
	v_add_f32_e32 v18, v66, v24
	v_mul_f32_e32 v24, 0xbf7d64f0, v70
	v_add_f32_e32 v66, v19, v30
	v_dual_add_f32 v22, v68, v32 :: v_dual_fmamk_f32 v67, v71, 0x3f7d64f0, v47
	v_add_f32_e32 v19, v25, v72
	s_delay_alu instid0(VALU_DEP_4) | instskip(SKIP_1) | instid1(VALU_DEP_4)
	v_fmamk_f32 v25, v73, 0xbe11bafb, v24
	v_fma_f32 v68, 0xbe11bafb, v73, -v24
	v_dual_add_f32 v22, v22, v28 :: v_dual_fmac_f32 v47, 0xbf7d64f0, v71
	v_add_f32_e32 v66, v66, v31
	s_delay_alu instid0(VALU_DEP_4) | instskip(NEXT) | instid1(VALU_DEP_3)
	v_dual_add_f32 v24, v25, v69 :: v_dual_add_f32 v25, v67, v74
	v_dual_add_f32 v22, v22, v29 :: v_dual_add_f32 v69, v23, v27
	v_add_f32_e32 v41, v41, v45
	s_delay_alu instid0(VALU_DEP_2) | instskip(SKIP_1) | instid1(VALU_DEP_2)
	v_dual_add_f32 v67, v22, v34 :: v_dual_add_f32 v22, v68, v77
	v_sub_f32_e32 v68, v26, v46
	v_add_f32_e32 v67, v67, v38
	s_delay_alu instid0(VALU_DEP_1) | instskip(SKIP_1) | instid1(VALU_DEP_2)
	v_dual_add_f32 v71, v26, v46 :: v_dual_add_f32 v26, v67, v44
	v_sub_f32_e32 v67, v23, v27
	v_mul_f32_e32 v73, 0x3f575c64, v71
	v_dual_add_f32 v23, v47, v78 :: v_dual_add_f32 v66, v66, v35
	s_delay_alu instid0(VALU_DEP_4) | instskip(NEXT) | instid1(VALU_DEP_3)
	v_dual_mul_f32 v79, 0xbf4178ce, v68 :: v_dual_add_f32 v26, v26, v27
	v_fmamk_f32 v47, v67, 0x3f0a6770, v73
	v_fmac_f32_e32 v73, 0xbf0a6770, v67
	s_delay_alu instid0(VALU_DEP_3) | instskip(SKIP_2) | instid1(VALU_DEP_4)
	v_dual_add_f32 v66, v66, v39 :: v_dual_fmamk_f32 v81, v69, 0xbf27a4f4, v79
	v_mul_f32_e32 v82, 0xbf27a4f4, v71
	v_fma_f32 v79, 0xbf27a4f4, v69, -v79
	v_add_f32_e32 v73, v7, v73
	s_delay_alu instid0(VALU_DEP_4) | instskip(NEXT) | instid1(VALU_DEP_3)
	v_dual_add_f32 v66, v66, v45 :: v_dual_add_f32 v47, v7, v47
	v_dual_mul_f32 v76, 0xbf7d64f0, v68 :: v_dual_add_f32 v79, v6, v79
	s_delay_alu instid0(VALU_DEP_2) | instskip(NEXT) | instid1(VALU_DEP_2)
	v_dual_mul_f32 v70, 0xbf0a6770, v68 :: v_dual_add_f32 v27, v66, v46
	v_dual_mul_f32 v78, 0xbe11bafb, v71 :: v_dual_fmamk_f32 v77, v69, 0xbe11bafb, v76
	v_mul_f32_e32 v66, 0xbf68dda4, v68
	v_fma_f32 v76, 0xbe11bafb, v69, -v76
	s_delay_alu instid0(VALU_DEP_4) | instskip(SKIP_1) | instid1(VALU_DEP_4)
	v_fmamk_f32 v72, v69, 0x3f575c64, v70
	v_fmamk_f32 v83, v67, 0x3f4178ce, v82
	v_dual_add_f32 v77, v6, v77 :: v_dual_fmamk_f32 v74, v69, 0x3ed4b147, v66
	s_delay_alu instid0(VALU_DEP_4) | instskip(NEXT) | instid1(VALU_DEP_4)
	v_add_f32_e32 v76, v6, v76
	v_add_f32_e32 v46, v6, v72
	v_dual_mul_f32 v72, 0x3ed4b147, v71 :: v_dual_add_f32 v81, v6, v81
	v_fma_f32 v66, 0x3ed4b147, v69, -v66
	v_mul_f32_e32 v71, 0xbf75a155, v71
	v_dual_add_f32 v83, v7, v83 :: v_dual_add_f32 v74, v6, v74
	s_delay_alu instid0(VALU_DEP_3) | instskip(NEXT) | instid1(VALU_DEP_3)
	v_dual_fmamk_f32 v75, v67, 0x3f68dda4, v72 :: v_dual_add_f32 v66, v6, v66
	v_fmamk_f32 v129, v67, 0x3e903f40, v71
	v_fmac_f32_e32 v72, 0xbf68dda4, v67
	v_fmamk_f32 v80, v67, 0x3f7d64f0, v78
	v_dual_mul_f32 v68, 0xbe903f40, v68 :: v_dual_fmac_f32 v71, 0xbe903f40, v67
	v_fma_f32 v70, 0x3f575c64, v69, -v70
	v_add_f32_e32 v129, v7, v129
	v_add_f32_e32 v72, v7, v72
	v_dual_add_f32 v80, v7, v80 :: v_dual_mul_f32 v45, 0xbf68dda4, v130
	v_fmamk_f32 v128, v69, 0xbf75a155, v68
	v_fma_f32 v68, 0xbf75a155, v69, -v68
	v_add_f32_e32 v70, v6, v70
	v_fmac_f32_e32 v78, 0xbf7d64f0, v67
	v_fmac_f32_e32 v82, 0xbf4178ce, v67
	v_add_f32_e32 v128, v6, v128
	v_dual_sub_f32 v40, v40, v44 :: v_dual_fmamk_f32 v67, v131, 0x3ed4b147, v45
	v_add_f32_e32 v6, v6, v68
	v_dual_mul_f32 v68, 0xbf4178ce, v130 :: v_dual_add_f32 v75, v7, v75
	v_mul_f32_e32 v44, 0x3ed4b147, v41
	s_delay_alu instid0(VALU_DEP_4) | instskip(SKIP_1) | instid1(VALU_DEP_4)
	v_add_f32_e32 v46, v67, v46
	v_fma_f32 v45, 0x3ed4b147, v131, -v45
	v_fmamk_f32 v67, v131, 0xbf27a4f4, v68
	s_delay_alu instid0(VALU_DEP_4) | instskip(NEXT) | instid1(VALU_DEP_3)
	v_fmamk_f32 v69, v40, 0x3f68dda4, v44
	v_add_f32_e32 v45, v45, v70
	s_delay_alu instid0(VALU_DEP_3) | instskip(NEXT) | instid1(VALU_DEP_3)
	v_add_f32_e32 v67, v67, v74
	v_dual_add_f32 v82, v7, v82 :: v_dual_add_f32 v47, v69, v47
	v_dual_mul_f32 v69, 0xbf27a4f4, v41 :: v_dual_add_f32 v78, v7, v78
	v_add_f32_e32 v7, v7, v71
	s_delay_alu instid0(VALU_DEP_2) | instskip(SKIP_2) | instid1(VALU_DEP_3)
	v_fmamk_f32 v71, v40, 0x3f4178ce, v69
	v_fmac_f32_e32 v69, 0xbf4178ce, v40
	v_fma_f32 v68, 0xbf27a4f4, v131, -v68
	v_dual_add_f32 v71, v71, v75 :: v_dual_fmac_f32 v44, 0xbf68dda4, v40
	s_delay_alu instid0(VALU_DEP_2) | instskip(NEXT) | instid1(VALU_DEP_2)
	v_dual_add_f32 v66, v68, v66 :: v_dual_mul_f32 v75, 0xbe11bafb, v41
	v_add_f32_e32 v44, v44, v73
	v_dual_mul_f32 v73, 0xbf75a155, v41 :: v_dual_add_f32 v68, v69, v72
	v_mul_f32_e32 v41, 0x3f575c64, v41
	s_delay_alu instid0(VALU_DEP_2) | instskip(NEXT) | instid1(VALU_DEP_1)
	v_fmamk_f32 v69, v40, 0xbe903f40, v73
	v_dual_mul_f32 v70, 0x3e903f40, v130 :: v_dual_add_f32 v69, v69, v80
	s_delay_alu instid0(VALU_DEP_1) | instskip(SKIP_1) | instid1(VALU_DEP_2)
	v_fmamk_f32 v74, v131, 0xbf75a155, v70
	v_fma_f32 v70, 0xbf75a155, v131, -v70
	v_dual_fmac_f32 v73, 0x3e903f40, v40 :: v_dual_add_f32 v72, v74, v77
	v_mul_f32_e32 v74, 0x3f7d64f0, v130
	s_delay_alu instid0(VALU_DEP_3) | instskip(SKIP_1) | instid1(VALU_DEP_4)
	v_add_f32_e32 v70, v70, v76
	v_mul_f32_e32 v76, 0x3f0a6770, v130
	v_dual_add_f32 v73, v73, v78 :: v_dual_fmamk_f32 v78, v40, 0xbf7d64f0, v75
	s_delay_alu instid0(VALU_DEP_4) | instskip(SKIP_1) | instid1(VALU_DEP_2)
	v_fmamk_f32 v77, v131, 0xbe11bafb, v74
	v_fmac_f32_e32 v75, 0x3f7d64f0, v40
	v_dual_fmamk_f32 v80, v131, 0x3f575c64, v76 :: v_dual_add_f32 v77, v77, v81
	v_fma_f32 v74, 0xbe11bafb, v131, -v74
	s_delay_alu instid0(VALU_DEP_3) | instskip(SKIP_2) | instid1(VALU_DEP_4)
	v_add_f32_e32 v75, v75, v82
	v_fmamk_f32 v81, v40, 0xbf0a6770, v41
	v_dual_fmac_f32 v41, 0x3f0a6770, v40 :: v_dual_add_f32 v78, v78, v83
	v_dual_add_f32 v74, v74, v79 :: v_dual_add_f32 v79, v80, v128
	v_sub_f32_e32 v80, v37, v39
	v_add_f32_e32 v37, v37, v39
	v_add_f32_e32 v39, v36, v38
	v_sub_f32_e32 v36, v36, v38
	v_fma_f32 v76, 0x3f575c64, v131, -v76
	v_dual_mul_f32 v82, 0xbf7d64f0, v80 :: v_dual_add_f32 v7, v41, v7
	v_mul_f32_e32 v38, 0xbe11bafb, v37
	v_add_f32_e32 v40, v81, v129
	v_mul_f32_e32 v83, 0x3ed4b147, v37
	s_delay_alu instid0(VALU_DEP_4) | instskip(SKIP_3) | instid1(VALU_DEP_4)
	v_fmamk_f32 v81, v39, 0xbe11bafb, v82
	v_sub_f32_e32 v129, v64, v61
	v_fmamk_f32 v41, v36, 0x3f7d64f0, v38
	v_add_f32_e32 v6, v76, v6
	v_add_f32_e32 v46, v81, v46
	v_fma_f32 v81, 0xbe11bafb, v39, -v82
	s_delay_alu instid0(VALU_DEP_4) | instskip(SKIP_1) | instid1(VALU_DEP_3)
	v_dual_mul_f32 v76, 0x3e903f40, v80 :: v_dual_add_f32 v41, v41, v47
	v_mul_f32_e32 v82, 0xbf75a155, v37
	v_add_f32_e32 v45, v81, v45
	s_delay_alu instid0(VALU_DEP_3) | instskip(SKIP_2) | instid1(VALU_DEP_2)
	v_fmamk_f32 v47, v39, 0xbf75a155, v76
	v_fmac_f32_e32 v38, 0xbf7d64f0, v36
	v_fma_f32 v76, 0xbf75a155, v39, -v76
	v_dual_add_f32 v47, v47, v67 :: v_dual_add_f32 v38, v38, v44
	v_fmamk_f32 v67, v36, 0xbe903f40, v82
	v_mul_f32_e32 v44, 0x3f68dda4, v80
	s_delay_alu instid0(VALU_DEP_2) | instskip(NEXT) | instid1(VALU_DEP_2)
	v_dual_add_f32 v66, v76, v66 :: v_dual_add_f32 v67, v67, v71
	v_fmamk_f32 v81, v39, 0x3ed4b147, v44
	s_delay_alu instid0(VALU_DEP_1) | instskip(SKIP_2) | instid1(VALU_DEP_3)
	v_dual_add_f32 v71, v81, v72 :: v_dual_fmamk_f32 v72, v36, 0xbf68dda4, v83
	v_mul_f32_e32 v81, 0x3f575c64, v37
	v_mul_f32_e32 v37, 0xbf27a4f4, v37
	v_add_f32_e32 v69, v72, v69
	v_fma_f32 v44, 0x3ed4b147, v39, -v44
	s_delay_alu instid0(VALU_DEP_1) | instskip(NEXT) | instid1(VALU_DEP_1)
	v_dual_fmac_f32 v83, 0x3f68dda4, v36 :: v_dual_add_f32 v44, v44, v70
	v_dual_add_f32 v70, v83, v73 :: v_dual_fmamk_f32 v73, v36, 0x3f0a6770, v81
	v_fmac_f32_e32 v81, 0xbf0a6770, v36
	v_mul_f32_e32 v76, 0xbf0a6770, v80
	v_mul_f32_e32 v80, 0xbf4178ce, v80
	s_delay_alu instid0(VALU_DEP_4) | instskip(NEXT) | instid1(VALU_DEP_3)
	v_dual_fmac_f32 v82, 0x3e903f40, v36 :: v_dual_add_f32 v73, v73, v78
	v_dual_add_f32 v75, v81, v75 :: v_dual_fmamk_f32 v72, v39, 0x3f575c64, v76
	v_fma_f32 v76, 0x3f575c64, v39, -v76
	s_delay_alu instid0(VALU_DEP_3) | instskip(NEXT) | instid1(VALU_DEP_3)
	v_add_f32_e32 v68, v82, v68
	v_dual_add_f32 v72, v72, v77 :: v_dual_fmamk_f32 v77, v39, 0xbf27a4f4, v80
	s_delay_alu instid0(VALU_DEP_3) | instskip(SKIP_2) | instid1(VALU_DEP_4)
	v_add_f32_e32 v74, v76, v74
	v_sub_f32_e32 v76, v33, v35
	v_dual_fmamk_f32 v78, v36, 0x3f4178ce, v37 :: v_dual_add_f32 v33, v33, v35
	v_add_f32_e32 v77, v77, v79
	v_add_f32_e32 v79, v32, v34
	s_delay_alu instid0(VALU_DEP_4) | instskip(SKIP_4) | instid1(VALU_DEP_4)
	v_dual_mul_f32 v35, 0xbf4178ce, v76 :: v_dual_sub_f32 v32, v32, v34
	v_fma_f32 v39, 0xbf27a4f4, v39, -v80
	v_fmac_f32_e32 v37, 0xbf4178ce, v36
	v_mul_f32_e32 v34, 0xbf27a4f4, v33
	v_add_f32_e32 v40, v78, v40
	v_add_f32_e32 v6, v39, v6
	s_delay_alu instid0(VALU_DEP_4) | instskip(NEXT) | instid1(VALU_DEP_4)
	v_dual_fmamk_f32 v36, v79, 0xbf27a4f4, v35 :: v_dual_add_f32 v7, v37, v7
	v_fmamk_f32 v37, v32, 0x3f4178ce, v34
	v_mul_f32_e32 v39, 0x3f7d64f0, v76
	v_fma_f32 v35, 0xbf27a4f4, v79, -v35
	s_delay_alu instid0(VALU_DEP_4) | instskip(NEXT) | instid1(VALU_DEP_4)
	v_add_f32_e32 v36, v36, v46
	v_dual_fmac_f32 v34, 0xbf4178ce, v32 :: v_dual_add_f32 v37, v37, v41
	s_delay_alu instid0(VALU_DEP_4) | instskip(NEXT) | instid1(VALU_DEP_2)
	v_dual_mul_f32 v41, 0xbe11bafb, v33 :: v_dual_fmamk_f32 v46, v79, 0xbe11bafb, v39
	v_dual_add_f32 v35, v35, v45 :: v_dual_add_f32 v34, v34, v38
	v_fma_f32 v39, 0xbe11bafb, v79, -v39
	s_delay_alu instid0(VALU_DEP_3) | instskip(SKIP_2) | instid1(VALU_DEP_4)
	v_dual_fmamk_f32 v45, v32, 0xbf7d64f0, v41 :: v_dual_add_f32 v46, v46, v47
	v_mul_f32_e32 v38, 0xbf0a6770, v76
	v_fmac_f32_e32 v41, 0x3f7d64f0, v32
	v_dual_add_f32 v39, v39, v66 :: v_dual_mul_f32 v66, 0xbe903f40, v76
	s_delay_alu instid0(VALU_DEP_4) | instskip(NEXT) | instid1(VALU_DEP_4)
	v_add_f32_e32 v45, v45, v67
	v_fmamk_f32 v47, v79, 0x3f575c64, v38
	v_fma_f32 v38, 0x3f575c64, v79, -v38
	s_delay_alu instid0(VALU_DEP_4) | instskip(SKIP_1) | instid1(VALU_DEP_3)
	v_fmamk_f32 v78, v79, 0xbf75a155, v66
	v_fma_f32 v66, 0xbf75a155, v79, -v66
	v_dual_mul_f32 v67, 0x3f575c64, v33 :: v_dual_add_f32 v38, v38, v44
	v_add_f32_e32 v47, v47, v71
	s_delay_alu instid0(VALU_DEP_3) | instskip(NEXT) | instid1(VALU_DEP_3)
	v_dual_mul_f32 v71, 0xbf75a155, v33 :: v_dual_add_f32 v66, v66, v74
	v_dual_add_f32 v41, v41, v68 :: v_dual_fmamk_f32 v68, v32, 0x3f0a6770, v67
	v_mul_f32_e32 v33, 0x3ed4b147, v33
	s_delay_alu instid0(VALU_DEP_3) | instskip(NEXT) | instid1(VALU_DEP_3)
	v_fmamk_f32 v44, v32, 0x3e903f40, v71
	v_dual_fmac_f32 v67, 0xbf0a6770, v32 :: v_dual_add_f32 v68, v68, v69
	s_delay_alu instid0(VALU_DEP_3) | instskip(NEXT) | instid1(VALU_DEP_2)
	v_fmamk_f32 v74, v32, 0xbf68dda4, v33
	v_dual_add_f32 v44, v44, v73 :: v_dual_add_f32 v67, v67, v70
	v_mul_f32_e32 v70, 0x3f68dda4, v76
	v_add_f32_e32 v69, v78, v72
	v_sub_f32_e32 v73, v30, v31
	v_add_f32_e32 v74, v74, v40
	v_fmac_f32_e32 v33, 0x3f68dda4, v32
	v_fmamk_f32 v72, v79, 0x3ed4b147, v70
	s_delay_alu instid0(VALU_DEP_4) | instskip(NEXT) | instid1(VALU_DEP_1)
	v_dual_fmac_f32 v71, 0xbe903f40, v32 :: v_dual_mul_f32 v76, 0xbe903f40, v73
	v_dual_add_f32 v72, v72, v77 :: v_dual_add_f32 v71, v71, v75
	v_add_f32_e32 v77, v30, v31
	v_fma_f32 v30, 0x3ed4b147, v79, -v70
	v_sub_f32_e32 v70, v28, v29
	v_add_f32_e32 v75, v28, v29
	v_mul_f32_e32 v29, 0x3f0a6770, v73
	v_mul_f32_e32 v28, 0xbf75a155, v77
	v_add_f32_e32 v78, v30, v6
	v_mul_f32_e32 v32, 0x3f575c64, v77
	v_fmamk_f32 v31, v75, 0xbf75a155, v76
	s_delay_alu instid0(VALU_DEP_4) | instskip(SKIP_3) | instid1(VALU_DEP_4)
	v_dual_add_f32 v79, v33, v7 :: v_dual_fmamk_f32 v6, v70, 0x3e903f40, v28
	v_fma_f32 v7, 0xbf75a155, v75, -v76
	v_fmac_f32_e32 v28, 0xbe903f40, v70
	v_fmamk_f32 v33, v75, 0x3f575c64, v29
	v_dual_add_f32 v30, v31, v36 :: v_dual_add_f32 v31, v6, v37
	s_delay_alu instid0(VALU_DEP_3) | instskip(NEXT) | instid1(VALU_DEP_3)
	v_dual_add_f32 v6, v7, v35 :: v_dual_add_f32 v7, v28, v34
	v_dual_add_f32 v34, v33, v46 :: v_dual_mul_f32 v33, 0xbf27a4f4, v77
	v_fma_f32 v29, 0x3f575c64, v75, -v29
	v_fmamk_f32 v35, v70, 0xbf0a6770, v32
	v_fmac_f32_e32 v32, 0x3f0a6770, v70
	s_delay_alu instid0(VALU_DEP_4) | instskip(NEXT) | instid1(VALU_DEP_1)
	v_fmamk_f32 v37, v70, 0x3f4178ce, v33
	v_dual_mul_f32 v28, 0xbf4178ce, v73 :: v_dual_add_f32 v37, v37, v68
	s_delay_alu instid0(VALU_DEP_1) | instskip(SKIP_3) | instid1(VALU_DEP_3)
	v_fmamk_f32 v36, v75, 0xbf27a4f4, v28
	v_fma_f32 v40, 0xbf27a4f4, v75, -v28
	v_dual_add_f32 v28, v29, v39 :: v_dual_add_f32 v35, v35, v45
	v_add_f32_e32 v29, v32, v41
	v_dual_mul_f32 v45, 0x3ed4b147, v77 :: v_dual_add_f32 v32, v40, v38
	v_add_f32_e32 v40, v1, v43
	v_dual_mul_f32 v38, 0x3f68dda4, v73 :: v_dual_add_f32 v39, v0, v42
	v_dual_fmac_f32 v33, 0xbf4178ce, v70 :: v_dual_add_f32 v36, v36, v47
	s_delay_alu instid0(VALU_DEP_2) | instskip(SKIP_1) | instid1(VALU_DEP_2)
	v_dual_add_f32 v46, v40, v64 :: v_dual_fmamk_f32 v41, v75, 0x3ed4b147, v38
	v_fma_f32 v38, 0x3ed4b147, v75, -v38
	v_dual_add_f32 v33, v33, v67 :: v_dual_add_f32 v46, v46, v57
	s_delay_alu instid0(VALU_DEP_3) | instskip(NEXT) | instid1(VALU_DEP_3)
	v_dual_fmamk_f32 v47, v70, 0xbf68dda4, v45 :: v_dual_add_f32 v40, v41, v69
	v_add_f32_e32 v38, v38, v66
	v_dual_mul_f32 v66, 0xbe11bafb, v77 :: v_dual_add_f32 v69, v42, v62
	s_delay_alu instid0(VALU_DEP_3) | instskip(SKIP_1) | instid1(VALU_DEP_2)
	v_dual_add_f32 v41, v47, v44 :: v_dual_add_f32 v44, v46, v53
	v_add_f32_e32 v39, v39, v65
	v_dual_mul_f32 v47, 0xbf7d64f0, v73 :: v_dual_add_f32 v68, v44, v50
	s_delay_alu instid0(VALU_DEP_2) | instskip(NEXT) | instid1(VALU_DEP_1)
	v_add_f32_e32 v39, v39, v56
	v_add_f32_e32 v39, v39, v52
	s_delay_alu instid0(VALU_DEP_1) | instskip(SKIP_2) | instid1(VALU_DEP_1)
	v_add_f32_e32 v67, v39, v48
	v_fmac_f32_e32 v45, 0x3f68dda4, v70
	v_fmamk_f32 v46, v75, 0xbe11bafb, v47
	v_add_f32_e32 v44, v46, v72
	s_delay_alu instid0(VALU_DEP_3)
	v_dual_add_f32 v46, v67, v49 :: v_dual_add_f32 v39, v45, v71
	v_add_f32_e32 v67, v68, v51
	v_fma_f32 v47, 0xbe11bafb, v75, -v47
	v_fmamk_f32 v45, v70, 0x3f7d64f0, v66
	v_fmac_f32_e32 v66, 0xbf7d64f0, v70
	v_add_f32_e32 v68, v46, v54
	v_add_f32_e32 v70, v43, v63
	;; [unrolled: 1-line block ×4, first 2 shown]
	s_delay_alu instid0(VALU_DEP_4)
	v_dual_add_f32 v47, v66, v79 :: v_dual_add_f32 v68, v68, v58
	v_sub_f32_e32 v66, v43, v63
	ds_store_2addr_b64 v239, v[2:3], v[8:9] offset1:51
	ds_store_2addr_b64 v239, v[10:11], v[16:17] offset0:102 offset1:153
	ds_store_2addr_b64 v239, v[20:21], v[24:25] offset0:204 offset1:255
	;; [unrolled: 1-line block ×8, first 2 shown]
	scratch_load_b32 v5, off, off offset:260 th:TH_LOAD_LU ; 4-byte Folded Reload
	v_dual_mul_f32 v72, 0x3f575c64, v70 :: v_dual_add_f32 v43, v68, v60
	v_mul_f32_e32 v74, 0x3ed4b147, v70
	v_dual_sub_f32 v68, v42, v62 :: v_dual_add_f32 v67, v67, v55
	v_mul_f32_e32 v71, 0xbf0a6770, v66
	s_delay_alu instid0(VALU_DEP_4) | instskip(SKIP_1) | instid1(VALU_DEP_4)
	v_add_f32_e32 v42, v43, v62
	v_mul_f32_e32 v62, 0xbf68dda4, v66
	v_dual_mul_f32 v80, 0xbf4178ce, v66 :: v_dual_add_f32 v67, v67, v59
	v_mul_f32_e32 v81, 0xbf27a4f4, v70
	v_fmamk_f32 v76, v68, 0x3f68dda4, v74
	v_fmac_f32_e32 v74, 0xbf68dda4, v68
	s_delay_alu instid0(VALU_DEP_4)
	v_dual_fmamk_f32 v82, v69, 0xbf27a4f4, v80 :: v_dual_add_f32 v67, v67, v61
	v_fma_f32 v80, 0xbf27a4f4, v69, -v80
	v_mul_f32_e32 v75, 0xbf7d64f0, v66
	v_mul_f32_e32 v66, 0xbe903f40, v66
	v_fmamk_f32 v83, v68, 0x3f4178ce, v81
	v_add_f32_e32 v43, v67, v63
	v_fmamk_f32 v63, v68, 0x3f0a6770, v72
	v_fmac_f32_e32 v72, 0xbf0a6770, v68
	v_fmamk_f32 v73, v69, 0x3f575c64, v71
	v_fma_f32 v71, 0x3f575c64, v69, -v71
	s_delay_alu instid0(VALU_DEP_4) | instskip(SKIP_2) | instid1(VALU_DEP_4)
	v_dual_add_f32 v80, v0, v80 :: v_dual_add_f32 v63, v1, v63
	v_fmamk_f32 v78, v69, 0xbe11bafb, v75
	v_fma_f32 v75, 0xbe11bafb, v69, -v75
	v_add_f32_e32 v71, v0, v71
	v_dual_add_f32 v67, v0, v73 :: v_dual_fmamk_f32 v128, v69, 0xbf75a155, v66
	v_mul_f32_e32 v77, 0xbe11bafb, v70
	s_delay_alu instid0(VALU_DEP_4) | instskip(SKIP_1) | instid1(VALU_DEP_4)
	v_add_f32_e32 v75, v0, v75
	v_dual_fmamk_f32 v73, v69, 0x3ed4b147, v62 :: v_dual_add_f32 v78, v0, v78
	v_add_f32_e32 v128, v0, v128
	s_delay_alu instid0(VALU_DEP_4) | instskip(SKIP_2) | instid1(VALU_DEP_3)
	v_dual_add_f32 v74, v1, v74 :: v_dual_fmamk_f32 v79, v68, 0x3f7d64f0, v77
	v_dual_fmac_f32 v77, 0xbf7d64f0, v68 :: v_dual_add_f32 v82, v0, v82
	v_dual_mul_f32 v70, 0xbf75a155, v70 :: v_dual_add_f32 v61, v64, v61
	v_add_f32_e32 v79, v1, v79
	v_dual_add_f32 v73, v0, v73 :: v_dual_add_f32 v76, v1, v76
	v_fma_f32 v62, 0x3ed4b147, v69, -v62
	s_delay_alu instid0(VALU_DEP_4)
	v_dual_add_f32 v77, v1, v77 :: v_dual_fmamk_f32 v130, v68, 0x3e903f40, v70
	v_fmac_f32_e32 v81, 0xbf4178ce, v68
	v_fma_f32 v66, 0xbf75a155, v69, -v66
	v_add_f32_e32 v64, v65, v60
	v_dual_add_f32 v83, v1, v83 :: v_dual_fmac_f32 v70, 0xbe903f40, v68
	v_dual_mul_f32 v69, 0xbf68dda4, v129 :: v_dual_sub_f32 v60, v65, v60
	v_dual_mul_f32 v65, 0x3ed4b147, v61 :: v_dual_add_f32 v72, v1, v72
	v_add_f32_e32 v62, v0, v62
	v_add_f32_e32 v68, v1, v130
	v_dual_add_f32 v0, v0, v66 :: v_dual_add_f32 v81, v1, v81
	v_dual_fmamk_f32 v130, v64, 0x3ed4b147, v69 :: v_dual_add_f32 v1, v1, v70
	v_fmamk_f32 v66, v60, 0x3f68dda4, v65
	v_mul_f32_e32 v70, 0xbf4178ce, v129
	v_fma_f32 v69, 0x3ed4b147, v64, -v69
	s_delay_alu instid0(VALU_DEP_4) | instskip(NEXT) | instid1(VALU_DEP_3)
	v_dual_add_f32 v67, v130, v67 :: v_dual_mul_f32 v130, 0xbf27a4f4, v61
	v_dual_add_f32 v63, v66, v63 :: v_dual_fmamk_f32 v66, v64, 0xbf27a4f4, v70
	v_fmac_f32_e32 v65, 0xbf68dda4, v60
	s_delay_alu instid0(VALU_DEP_4) | instskip(SKIP_2) | instid1(VALU_DEP_4)
	v_add_f32_e32 v69, v69, v71
	v_fma_f32 v70, 0xbf27a4f4, v64, -v70
	v_mul_f32_e32 v71, 0x3e903f40, v129
	v_dual_add_f32 v66, v66, v73 :: v_dual_add_f32 v65, v65, v72
	v_fmamk_f32 v72, v60, 0x3f4178ce, v130
	s_delay_alu instid0(VALU_DEP_4) | instskip(NEXT) | instid1(VALU_DEP_4)
	v_dual_mul_f32 v131, 0xbf75a155, v61 :: v_dual_add_f32 v62, v70, v62
	v_fmamk_f32 v73, v64, 0xbf75a155, v71
	v_fmac_f32_e32 v130, 0xbf4178ce, v60
	s_delay_alu instid0(VALU_DEP_4)
	v_add_f32_e32 v72, v72, v76
	v_mul_f32_e32 v76, 0x3f7d64f0, v129
	v_fma_f32 v71, 0xbf75a155, v64, -v71
	v_add_f32_e32 v73, v73, v78
	v_add_f32_e32 v70, v130, v74
	v_fmamk_f32 v74, v60, 0xbe903f40, v131
	s_delay_alu instid0(VALU_DEP_4)
	v_dual_mul_f32 v78, 0xbe11bafb, v61 :: v_dual_add_f32 v71, v71, v75
	v_mul_f32_e32 v61, 0x3f575c64, v61
	ds_store_2addr_b64 v154, v[38:39], v[32:33] offset0:150 offset1:201
	v_dual_add_f32 v74, v74, v79 :: v_dual_fmamk_f32 v79, v64, 0xbe11bafb, v76
	v_fmac_f32_e32 v131, 0x3e903f40, v60
	v_fmamk_f32 v75, v60, 0xbf7d64f0, v78
	v_fmac_f32_e32 v78, 0x3f7d64f0, v60
	ds_store_2addr_b64 v158, v[28:29], v[6:7] offset0:124 offset1:175
	v_add_f32_e32 v79, v79, v82
	v_fma_f32 v76, 0xbe11bafb, v64, -v76
	v_mul_f32_e32 v129, 0x3f0a6770, v129
	v_add_f32_e32 v78, v78, v81
	s_delay_alu instid0(VALU_DEP_3) | instskip(SKIP_1) | instid1(VALU_DEP_4)
	v_add_f32_e32 v76, v76, v80
	v_dual_sub_f32 v80, v57, v59 :: v_dual_add_f32 v77, v131, v77
	v_dual_add_f32 v75, v75, v83 :: v_dual_fmamk_f32 v82, v64, 0x3f575c64, v129
	v_add_f32_e32 v83, v56, v58
	s_delay_alu instid0(VALU_DEP_2) | instskip(SKIP_3) | instid1(VALU_DEP_2)
	v_dual_sub_f32 v56, v56, v58 :: v_dual_add_f32 v81, v82, v128
	v_fmamk_f32 v82, v60, 0xbf0a6770, v61
	v_dual_mul_f32 v128, 0xbf7d64f0, v80 :: v_dual_add_f32 v57, v57, v59
	v_fma_f32 v59, 0x3f575c64, v64, -v129
	v_fmamk_f32 v58, v83, 0xbe11bafb, v128
	v_fmac_f32_e32 v61, 0x3f0a6770, v60
	s_delay_alu instid0(VALU_DEP_4) | instskip(NEXT) | instid1(VALU_DEP_4)
	v_mul_f32_e32 v60, 0xbe11bafb, v57
	v_add_f32_e32 v0, v59, v0
	s_delay_alu instid0(VALU_DEP_4) | instskip(SKIP_1) | instid1(VALU_DEP_4)
	v_add_f32_e32 v58, v58, v67
	v_fma_f32 v67, 0xbe11bafb, v83, -v128
	v_dual_fmamk_f32 v59, v56, 0x3f7d64f0, v60 :: v_dual_add_f32 v64, v82, v68
	v_add_f32_e32 v1, v61, v1
	v_mul_f32_e32 v82, 0x3f575c64, v57
	s_delay_alu instid0(VALU_DEP_4) | instskip(NEXT) | instid1(VALU_DEP_4)
	v_add_f32_e32 v67, v67, v69
	v_dual_add_f32 v59, v59, v63 :: v_dual_fmac_f32 v60, 0xbf7d64f0, v56
	v_mul_f32_e32 v61, 0x3e903f40, v80
	s_delay_alu instid0(VALU_DEP_2) | instskip(NEXT) | instid1(VALU_DEP_2)
	v_dual_mul_f32 v69, 0x3f68dda4, v80 :: v_dual_add_f32 v60, v60, v65
	v_dual_mul_f32 v68, 0xbf75a155, v57 :: v_dual_fmamk_f32 v63, v83, 0xbf75a155, v61
	v_fma_f32 v61, 0xbf75a155, v83, -v61
	s_delay_alu instid0(VALU_DEP_2) | instskip(NEXT) | instid1(VALU_DEP_2)
	v_add_f32_e32 v63, v63, v66
	v_dual_fmamk_f32 v66, v83, 0x3ed4b147, v69 :: v_dual_add_f32 v61, v61, v62
	s_delay_alu instid0(VALU_DEP_4) | instskip(SKIP_1) | instid1(VALU_DEP_2)
	v_fmamk_f32 v65, v56, 0xbe903f40, v68
	v_fmac_f32_e32 v68, 0x3e903f40, v56
	v_dual_add_f32 v66, v66, v73 :: v_dual_add_f32 v65, v65, v72
	v_mul_f32_e32 v72, 0x3ed4b147, v57
	s_delay_alu instid0(VALU_DEP_3) | instskip(SKIP_4) | instid1(VALU_DEP_4)
	v_add_f32_e32 v62, v68, v70
	v_fma_f32 v69, 0x3ed4b147, v83, -v69
	v_mul_f32_e32 v68, 0xbf0a6770, v80
	v_mul_f32_e32 v57, 0xbf27a4f4, v57
	v_fmamk_f32 v70, v56, 0xbf68dda4, v72
	v_dual_fmac_f32 v72, 0x3f68dda4, v56 :: v_dual_add_f32 v69, v69, v71
	s_delay_alu instid0(VALU_DEP_4) | instskip(SKIP_1) | instid1(VALU_DEP_3)
	v_fmamk_f32 v73, v83, 0x3f575c64, v68
	v_fma_f32 v68, 0x3f575c64, v83, -v68
	v_add_f32_e32 v71, v72, v77
	s_delay_alu instid0(VALU_DEP_3) | instskip(SKIP_3) | instid1(VALU_DEP_4)
	v_dual_fmamk_f32 v77, v56, 0x3f4178ce, v57 :: v_dual_add_f32 v72, v73, v79
	v_fmamk_f32 v73, v56, 0x3f0a6770, v82
	v_fmac_f32_e32 v82, 0xbf0a6770, v56
	v_add_f32_e32 v68, v68, v76
	v_dual_add_f32 v64, v77, v64 :: v_dual_add_f32 v77, v52, v54
	v_dual_fmac_f32 v57, 0xbf4178ce, v56 :: v_dual_sub_f32 v52, v52, v54
	s_delay_alu instid0(VALU_DEP_4) | instskip(SKIP_4) | instid1(VALU_DEP_3)
	v_dual_add_f32 v76, v82, v78 :: v_dual_add_f32 v73, v73, v75
	v_add_f32_e32 v70, v70, v74
	v_mul_f32_e32 v74, 0xbf4178ce, v80
	v_sub_f32_e32 v78, v53, v55
	v_add_f32_e32 v53, v53, v55
	v_fmamk_f32 v75, v83, 0xbf27a4f4, v74
	s_delay_alu instid0(VALU_DEP_3) | instskip(SKIP_1) | instid1(VALU_DEP_4)
	v_mul_f32_e32 v55, 0xbf4178ce, v78
	v_fma_f32 v74, 0xbf27a4f4, v83, -v74
	v_mul_f32_e32 v54, 0xbf27a4f4, v53
	v_add_f32_e32 v1, v57, v1
	v_mul_f32_e32 v57, 0x3f7d64f0, v78
	v_fmamk_f32 v56, v77, 0xbf27a4f4, v55
	v_add_f32_e32 v0, v74, v0
	v_fmamk_f32 v74, v52, 0x3f4178ce, v54
	v_fma_f32 v55, 0xbf27a4f4, v77, -v55
	v_add_f32_e32 v75, v75, v81
	s_delay_alu instid0(VALU_DEP_3) | instskip(NEXT) | instid1(VALU_DEP_3)
	v_add_f32_e32 v59, v74, v59
	v_dual_add_f32 v55, v55, v67 :: v_dual_add_f32 v56, v56, v58
	v_mul_f32_e32 v67, 0x3f575c64, v53
	v_fmamk_f32 v58, v77, 0xbe11bafb, v57
	v_mul_f32_e32 v74, 0xbe11bafb, v53
	v_fma_f32 v57, 0xbe11bafb, v77, -v57
	s_delay_alu instid0(VALU_DEP_2) | instskip(NEXT) | instid1(VALU_DEP_2)
	v_dual_add_f32 v58, v58, v63 :: v_dual_fmamk_f32 v63, v52, 0xbf7d64f0, v74
	v_dual_fmac_f32 v54, 0xbf4178ce, v52 :: v_dual_add_f32 v57, v57, v61
	s_delay_alu instid0(VALU_DEP_1) | instskip(SKIP_1) | instid1(VALU_DEP_1)
	v_dual_add_f32 v63, v63, v65 :: v_dual_add_f32 v54, v54, v60
	v_mul_f32_e32 v60, 0xbf0a6770, v78
	v_fmamk_f32 v79, v77, 0x3f575c64, v60
	v_fma_f32 v60, 0x3f575c64, v77, -v60
	s_delay_alu instid0(VALU_DEP_2) | instskip(SKIP_1) | instid1(VALU_DEP_3)
	v_dual_add_f32 v65, v79, v66 :: v_dual_fmac_f32 v74, 0x3f7d64f0, v52
	v_mul_f32_e32 v66, 0xbe903f40, v78
	v_dual_add_f32 v60, v60, v69 :: v_dual_mul_f32 v69, 0x3f68dda4, v78
	s_delay_alu instid0(VALU_DEP_3) | instskip(NEXT) | instid1(VALU_DEP_1)
	v_dual_add_f32 v61, v74, v62 :: v_dual_fmamk_f32 v62, v52, 0x3f0a6770, v67
	v_dual_fmac_f32 v67, 0xbf0a6770, v52 :: v_dual_add_f32 v62, v62, v70
	s_delay_alu instid0(VALU_DEP_1) | instskip(SKIP_1) | instid1(VALU_DEP_2)
	v_dual_mul_f32 v70, 0xbf75a155, v53 :: v_dual_add_f32 v67, v67, v71
	v_mul_f32_e32 v53, 0x3ed4b147, v53
	v_fmamk_f32 v71, v52, 0x3e903f40, v70
	s_delay_alu instid0(VALU_DEP_1) | instskip(SKIP_2) | instid1(VALU_DEP_2)
	v_add_f32_e32 v71, v71, v73
	v_dual_sub_f32 v73, v50, v51 :: v_dual_fmamk_f32 v74, v77, 0xbf75a155, v66
	v_fma_f32 v66, 0xbf75a155, v77, -v66
	v_add_f32_e32 v72, v74, v72
	v_fmamk_f32 v74, v77, 0x3ed4b147, v69
	v_fma_f32 v69, 0x3ed4b147, v77, -v69
	v_dual_sub_f32 v77, v48, v49 :: v_dual_fmac_f32 v70, 0xbe903f40, v52
	v_add_f32_e32 v66, v66, v68
	s_delay_alu instid0(VALU_DEP_3) | instskip(NEXT) | instid1(VALU_DEP_3)
	v_add_f32_e32 v69, v69, v0
	v_add_f32_e32 v68, v70, v76
	;; [unrolled: 1-line block ×3, first 2 shown]
	v_dual_add_f32 v75, v50, v51 :: v_dual_fmamk_f32 v74, v52, 0xbf68dda4, v53
	v_dual_add_f32 v76, v48, v49 :: v_dual_fmac_f32 v53, 0x3f68dda4, v52
	v_mul_f32_e32 v51, 0x3f0a6770, v73
	s_delay_alu instid0(VALU_DEP_3) | instskip(NEXT) | instid1(VALU_DEP_3)
	v_dual_mul_f32 v49, 0xbf75a155, v75 :: v_dual_add_f32 v64, v74, v64
	v_dual_add_f32 v74, v53, v1 :: v_dual_mul_f32 v53, 0x3f575c64, v75
	s_delay_alu instid0(VALU_DEP_2) | instskip(SKIP_2) | instid1(VALU_DEP_4)
	v_fmamk_f32 v1, v77, 0x3e903f40, v49
	v_fmac_f32_e32 v49, 0xbe903f40, v77
	v_mul_f32_e32 v50, 0xbe903f40, v73
	v_fmamk_f32 v52, v77, 0xbf0a6770, v53
	s_delay_alu instid0(VALU_DEP_4) | instskip(NEXT) | instid1(VALU_DEP_4)
	v_add_f32_e32 v1, v1, v59
	v_add_f32_e32 v49, v49, v54
	v_fmac_f32_e32 v53, 0x3f0a6770, v77
	v_fmamk_f32 v48, v76, 0xbf75a155, v50
	v_fma_f32 v54, 0x3f575c64, v76, -v51
	v_mul_f32_e32 v59, 0x3f68dda4, v73
	s_delay_alu instid0(VALU_DEP_3) | instskip(SKIP_4) | instid1(VALU_DEP_4)
	v_dual_add_f32 v53, v53, v61 :: v_dual_add_f32 v0, v48, v56
	v_fma_f32 v48, 0xbf75a155, v76, -v50
	v_fmamk_f32 v50, v76, 0x3f575c64, v51
	v_dual_add_f32 v51, v52, v63 :: v_dual_add_f32 v52, v54, v57
	v_mul_f32_e32 v61, 0x3ed4b147, v75
	v_dual_add_f32 v48, v48, v55 :: v_dual_mul_f32 v55, 0xbf4178ce, v73
	s_delay_alu instid0(VALU_DEP_4) | instskip(SKIP_2) | instid1(VALU_DEP_4)
	v_add_f32_e32 v50, v50, v58
	v_mul_f32_e32 v58, 0xbf27a4f4, v75
	v_fma_f32 v63, 0x3ed4b147, v76, -v59
	v_fmamk_f32 v56, v76, 0xbf27a4f4, v55
	v_fma_f32 v57, 0xbf27a4f4, v76, -v55
	s_delay_alu instid0(VALU_DEP_2) | instskip(SKIP_1) | instid1(VALU_DEP_1)
	v_dual_add_f32 v54, v56, v65 :: v_dual_mul_f32 v65, 0xbe11bafb, v75
	v_fmamk_f32 v56, v77, 0x3f4178ce, v58
	v_dual_add_f32 v55, v56, v62 :: v_dual_add_f32 v56, v57, v60
	v_fmamk_f32 v60, v77, 0xbf68dda4, v61
	v_fmamk_f32 v62, v76, 0x3ed4b147, v59
	v_fmac_f32_e32 v61, 0x3f68dda4, v77
	s_delay_alu instid0(VALU_DEP_3)
	v_dual_add_f32 v59, v60, v71 :: v_dual_add_f32 v60, v63, v66
	v_fmamk_f32 v66, v77, 0x3f7d64f0, v65
	v_fmac_f32_e32 v65, 0xbf7d64f0, v77
	v_fmac_f32_e32 v58, 0xbf4178ce, v77
	s_wait_loadcnt 0x0
	v_add_nc_u32_e32 v2, 0x2000, v5
	v_add_nc_u32_e32 v3, 0x2800, v5
	v_add_f32_e32 v61, v61, v68
	v_add_f32_e32 v65, v65, v74
	;; [unrolled: 1-line block ×4, first 2 shown]
	v_mul_f32_e32 v62, 0xbf7d64f0, v73
	v_add_nc_u32_e32 v4, 0x2c00, v5
	s_delay_alu instid0(VALU_DEP_2) | instskip(SKIP_1) | instid1(VALU_DEP_2)
	v_fmamk_f32 v63, v76, 0xbe11bafb, v62
	v_fma_f32 v67, 0xbe11bafb, v76, -v62
	v_dual_add_f32 v62, v63, v70 :: v_dual_add_f32 v63, v66, v64
	s_delay_alu instid0(VALU_DEP_2)
	v_add_f32_e32 v64, v67, v69
	ds_store_2addr_b64 v2, v[42:43], v[0:1] offset0:98 offset1:149
	ds_store_2addr_b64 v2, v[50:51], v[54:55] offset0:200 offset1:251
	;; [unrolled: 1-line block ×5, first 2 shown]
	ds_store_b64 v5, v[48:49] offset:13056
	global_wb scope:SCOPE_SE
	s_wait_dscnt 0x0
	s_barrier_signal -1
	s_barrier_wait -1
	global_inv scope:SCOPE_SE
	ds_load_2addr_b64 v[0:3], v156 offset0:126 offset1:177
	ds_load_2addr_b64 v[20:23], v153 offset0:98 offset1:149
	ds_load_2addr_b64 v[24:27], v239 offset1:51
	ds_load_2addr_b64 v[28:31], v155 offset0:100 offset1:151
	ds_load_2addr_b64 v[16:19], v239 offset0:102 offset1:153
	;; [unrolled: 1-line block ×12, first 2 shown]
	ds_load_b64 v[64:65], v239 offset:13056
	ds_load_2addr_b64 v[60:63], v158 offset0:124 offset1:175
	s_wait_dscnt 0x10
	v_mul_f32_e32 v67, v93, v2
	s_wait_dscnt 0xf
	v_mul_f32_e32 v69, v87, v23
	;; [unrolled: 2-line block ×4, first 2 shown]
	v_mul_f32_e32 v66, v93, v3
	v_fma_f32 v3, v92, v3, -v67
	s_wait_dscnt 0x8
	v_mul_f32_e32 v75, v107, v41
	v_mul_f32_e32 v68, v95, v21
	;; [unrolled: 1-line block ×3, first 2 shown]
	v_fmac_f32_e32 v73, v90, v34
	s_delay_alu instid0(VALU_DEP_4) | instskip(SKIP_4) | instid1(VALU_DEP_4)
	v_dual_fmac_f32 v66, v92, v2 :: v_dual_fmac_f32 v75, v106, v40
	v_mul_f32_e32 v2, v95, v20
	v_dual_fmac_f32 v68, v94, v20 :: v_dual_mul_f32 v77, v103, v43
	v_mul_f32_e32 v20, v85, v28
	v_fmac_f32_e32 v67, v84, v28
	v_fma_f32 v21, v94, v21, -v2
	s_wait_dscnt 0x5
	v_mul_f32_e32 v79, v115, v49
	v_fmac_f32_e32 v77, v102, v42
	v_fma_f32 v28, v84, v29, -v20
	v_mul_f32_e32 v20, v97, v30
	s_delay_alu instid0(VALU_DEP_4)
	v_dual_mul_f32 v2, v87, v22 :: v_dual_fmac_f32 v79, v114, v48
	s_wait_dscnt 0x2
	v_mul_f32_e32 v83, v123, v57
	v_mul_f32_e32 v72, v89, v37
	v_fma_f32 v31, v96, v31, -v20
	v_mul_f32_e32 v20, v89, v36
	v_fma_f32 v29, v86, v23, -v2
	v_dual_fmac_f32 v70, v96, v30 :: v_dual_mul_f32 v81, v111, v51
	v_mul_f32_e32 v2, v99, v32
	v_fmac_f32_e32 v83, v122, v56
	v_dual_fmac_f32 v72, v88, v36 :: v_dual_mul_f32 v85, v119, v59
	v_fma_f32 v36, v88, v37, -v20
	s_wait_dscnt 0x1
	v_dual_mul_f32 v20, v105, v38 :: v_dual_mul_f32 v87, v127, v65
	v_dual_mul_f32 v71, v99, v33 :: v_dual_mul_f32 v74, v105, v39
	v_fmac_f32_e32 v85, v118, v58
	s_delay_alu instid0(VALU_DEP_3) | instskip(SKIP_4) | instid1(VALU_DEP_4)
	v_fma_f32 v39, v104, v39, -v20
	v_mul_f32_e32 v76, v101, v45
	v_dual_mul_f32 v20, v101, v44 :: v_dual_fmac_f32 v81, v110, v50
	v_fma_f32 v33, v98, v33, -v2
	v_dual_mul_f32 v2, v91, v34 :: v_dual_fmac_f32 v87, v126, v64
	v_fmac_f32_e32 v76, v100, v44
	s_delay_alu instid0(VALU_DEP_4) | instskip(SKIP_1) | instid1(VALU_DEP_4)
	v_fma_f32 v44, v100, v45, -v20
	v_mul_f32_e32 v20, v113, v46
	v_fma_f32 v35, v90, v35, -v2
	v_add_f32_e32 v30, v25, v3
	v_dual_mul_f32 v2, v107, v40 :: v_dual_fmac_f32 v69, v86, v22
	v_mul_f32_e32 v78, v113, v47
	v_fma_f32 v47, v112, v47, -v20
	v_mul_f32_e32 v80, v109, v53
	s_delay_alu instid0(VALU_DEP_4) | instskip(SKIP_2) | instid1(VALU_DEP_4)
	v_fma_f32 v41, v106, v41, -v2
	v_mul_f32_e32 v2, v103, v42
	v_dual_mul_f32 v20, v109, v52 :: v_dual_sub_f32 v37, v31, v33
	v_fmac_f32_e32 v80, v108, v52
	v_mul_f32_e32 v82, v121, v55
	s_delay_alu instid0(VALU_DEP_4) | instskip(NEXT) | instid1(VALU_DEP_4)
	v_fma_f32 v43, v102, v43, -v2
	v_fma_f32 v52, v108, v53, -v20
	v_sub_f32_e32 v34, v67, v69
	v_mul_f32_e32 v2, v115, v48
	v_mul_f32_e32 v20, v121, v54
	s_wait_dscnt 0x0
	v_mul_f32_e32 v84, v117, v61
	v_mul_f32_e32 v86, v125, v63
	v_dual_fmac_f32 v74, v104, v38 :: v_dual_add_f32 v23, v3, v21
	v_fma_f32 v49, v114, v49, -v2
	v_mul_f32_e32 v2, v111, v50
	v_fma_f32 v55, v120, v55, -v20
	v_mul_f32_e32 v20, v117, v60
	v_dual_fmac_f32 v84, v116, v60 :: v_dual_sub_f32 v45, v39, v41
	s_delay_alu instid0(VALU_DEP_4) | instskip(SKIP_1) | instid1(VALU_DEP_4)
	v_fma_f32 v51, v110, v51, -v2
	v_mul_f32_e32 v2, v123, v56
	v_fma_f32 v60, v116, v61, -v20
	v_mul_f32_e32 v20, v125, v62
	v_fmac_f32_e32 v86, v124, v62
	v_add_f32_e32 v48, v44, v43
	v_fma_f32 v57, v122, v57, -v2
	v_mul_f32_e32 v2, v119, v58
	v_fma_f32 v62, v124, v63, -v20
	v_add_f32_e32 v20, v66, v68
	v_dual_add_f32 v22, v24, v66 :: v_dual_fmac_f32 v71, v98, v32
	s_delay_alu instid0(VALU_DEP_4) | instskip(SKIP_4) | instid1(VALU_DEP_4)
	v_fma_f32 v59, v118, v59, -v2
	v_mul_f32_e32 v2, v127, v64
	v_sub_f32_e32 v32, v28, v29
	v_add_f32_e32 v38, v18, v72
	v_dual_add_f32 v56, v52, v51 :: v_dual_sub_f32 v53, v47, v49
	v_fma_f32 v63, v126, v65, -v2
	v_fma_f32 v2, -0.5, v20, v24
	v_sub_f32_e32 v24, v3, v21
	v_fma_f32 v3, -0.5, v23, v25
	v_sub_f32_e32 v25, v66, v68
	v_add_f32_e32 v20, v22, v68
	s_delay_alu instid0(VALU_DEP_4) | instskip(SKIP_1) | instid1(VALU_DEP_4)
	v_dual_add_f32 v21, v30, v21 :: v_dual_fmamk_f32 v22, v24, 0xbf5db3d7, v2
	v_fmac_f32_e32 v2, 0x3f5db3d7, v24
	v_dual_add_f32 v24, v67, v69 :: v_dual_fmamk_f32 v23, v25, 0x3f5db3d7, v3
	v_dual_add_f32 v30, v26, v67 :: v_dual_fmac_f32 v3, 0xbf5db3d7, v25
	v_add_f32_e32 v25, v28, v29
	s_delay_alu instid0(VALU_DEP_3) | instskip(NEXT) | instid1(VALU_DEP_3)
	v_fma_f32 v26, -0.5, v24, v26
	v_dual_add_f32 v65, v60, v59 :: v_dual_add_f32 v24, v30, v69
	s_delay_alu instid0(VALU_DEP_3) | instskip(SKIP_1) | instid1(VALU_DEP_4)
	v_dual_add_f32 v30, v27, v28 :: v_dual_fmac_f32 v27, -0.5, v25
	v_fmac_f32_e32 v78, v112, v46
	v_fmamk_f32 v28, v32, 0xbf5db3d7, v26
	s_delay_alu instid0(VALU_DEP_3) | instskip(SKIP_4) | instid1(VALU_DEP_4)
	v_dual_fmac_f32 v26, 0x3f5db3d7, v32 :: v_dual_add_f32 v25, v30, v29
	v_add_f32_e32 v30, v70, v71
	v_fmamk_f32 v29, v34, 0x3f5db3d7, v27
	v_dual_fmac_f32 v27, 0xbf5db3d7, v34 :: v_dual_add_f32 v34, v31, v33
	v_add_f32_e32 v32, v16, v70
	v_fma_f32 v16, -0.5, v30, v16
	v_add_f32_e32 v31, v17, v31
	v_add_f32_e32 v40, v36, v35
	v_fma_f32 v17, -0.5, v34, v17
	v_sub_f32_e32 v34, v70, v71
	v_dual_add_f32 v30, v32, v71 :: v_dual_sub_f32 v61, v55, v57
	v_fmamk_f32 v32, v37, 0xbf5db3d7, v16
	v_fmac_f32_e32 v16, 0x3f5db3d7, v37
	v_add_f32_e32 v31, v31, v33
	v_add_f32_e32 v37, v72, v73
	v_fmamk_f32 v33, v34, 0x3f5db3d7, v17
	v_dual_fmac_f32 v17, 0xbf5db3d7, v34 :: v_dual_add_f32 v34, v38, v73
	v_add_f32_e32 v38, v19, v36
	v_dual_fmac_f32 v82, v120, v54 :: v_dual_fmac_f32 v19, -0.5, v40
	v_fma_f32 v18, -0.5, v37, v18
	v_sub_f32_e32 v37, v36, v35
	s_delay_alu instid0(VALU_DEP_4) | instskip(SKIP_2) | instid1(VALU_DEP_4)
	v_dual_sub_f32 v40, v72, v73 :: v_dual_add_f32 v35, v38, v35
	v_add_f32_e32 v38, v74, v75
	v_add_f32_e32 v42, v12, v74
	v_fmamk_f32 v36, v37, 0xbf5db3d7, v18
	s_delay_alu instid0(VALU_DEP_4)
	v_dual_fmac_f32 v18, 0x3f5db3d7, v37 :: v_dual_fmamk_f32 v37, v40, 0x3f5db3d7, v19
	v_dual_fmac_f32 v19, 0xbf5db3d7, v40 :: v_dual_add_f32 v40, v39, v41
	v_sub_f32_e32 v67, v62, v63
	v_fma_f32 v12, -0.5, v38, v12
	v_add_f32_e32 v38, v42, v75
	v_add_f32_e32 v39, v13, v39
	v_fma_f32 v13, -0.5, v40, v13
	v_add_f32_e32 v68, v1, v62
	v_dual_fmamk_f32 v40, v45, 0xbf5db3d7, v12 :: v_dual_sub_f32 v69, v86, v87
	v_sub_f32_e32 v42, v74, v75
	v_fmac_f32_e32 v12, 0x3f5db3d7, v45
	v_dual_add_f32 v45, v76, v77 :: v_dual_add_f32 v46, v14, v76
	v_add_f32_e32 v39, v39, v41
	s_delay_alu instid0(VALU_DEP_4) | instskip(SKIP_1) | instid1(VALU_DEP_4)
	v_fmamk_f32 v41, v42, 0x3f5db3d7, v13
	v_fmac_f32_e32 v13, 0xbf5db3d7, v42
	v_fma_f32 v14, -0.5, v45, v14
	v_dual_sub_f32 v45, v44, v43 :: v_dual_add_f32 v42, v46, v77
	v_add_f32_e32 v46, v15, v44
	v_dual_fmac_f32 v15, -0.5, v48 :: v_dual_sub_f32 v48, v76, v77
	s_delay_alu instid0(VALU_DEP_3) | instskip(NEXT) | instid1(VALU_DEP_3)
	v_fmamk_f32 v44, v45, 0xbf5db3d7, v14
	v_dual_fmac_f32 v14, 0x3f5db3d7, v45 :: v_dual_add_f32 v43, v46, v43
	s_delay_alu instid0(VALU_DEP_3) | instskip(SKIP_2) | instid1(VALU_DEP_3)
	v_dual_add_f32 v46, v78, v79 :: v_dual_fmamk_f32 v45, v48, 0x3f5db3d7, v15
	v_dual_add_f32 v50, v8, v78 :: v_dual_fmac_f32 v15, 0xbf5db3d7, v48
	v_add_f32_e32 v48, v47, v49
	v_fma_f32 v8, -0.5, v46, v8
	v_add_f32_e32 v47, v9, v47
	s_delay_alu instid0(VALU_DEP_4)
	v_add_f32_e32 v46, v50, v79
	v_sub_f32_e32 v50, v78, v79
	v_fma_f32 v9, -0.5, v48, v9
	v_add_f32_e32 v54, v10, v80
	v_fmamk_f32 v48, v53, 0xbf5db3d7, v8
	v_fmac_f32_e32 v8, 0x3f5db3d7, v53
	v_add_f32_e32 v47, v47, v49
	v_add_f32_e32 v53, v80, v81
	v_fmamk_f32 v49, v50, 0x3f5db3d7, v9
	v_dual_fmac_f32 v9, 0xbf5db3d7, v50 :: v_dual_add_f32 v50, v54, v81
	v_add_f32_e32 v54, v11, v52
	s_delay_alu instid0(VALU_DEP_4) | instskip(SKIP_2) | instid1(VALU_DEP_4)
	v_fma_f32 v10, -0.5, v53, v10
	v_sub_f32_e32 v53, v52, v51
	v_dual_fmac_f32 v11, -0.5, v56 :: v_dual_sub_f32 v56, v80, v81
	v_add_f32_e32 v51, v54, v51
	v_add_f32_e32 v54, v82, v83
	s_delay_alu instid0(VALU_DEP_4) | instskip(NEXT) | instid1(VALU_DEP_4)
	v_fmamk_f32 v52, v53, 0xbf5db3d7, v10
	v_dual_fmac_f32 v10, 0x3f5db3d7, v53 :: v_dual_fmamk_f32 v53, v56, 0x3f5db3d7, v11
	v_dual_add_f32 v58, v4, v82 :: v_dual_fmac_f32 v11, 0xbf5db3d7, v56
	v_add_f32_e32 v56, v55, v57
	v_fma_f32 v4, -0.5, v54, v4
	v_add_f32_e32 v55, v5, v55
	s_delay_alu instid0(VALU_DEP_4)
	v_add_f32_e32 v54, v58, v83
	v_sub_f32_e32 v58, v82, v83
	v_fma_f32 v5, -0.5, v56, v5
	v_fmamk_f32 v56, v61, 0xbf5db3d7, v4
	v_fmac_f32_e32 v4, 0x3f5db3d7, v61
	v_dual_add_f32 v61, v84, v85 :: v_dual_add_f32 v64, v6, v84
	v_add_f32_e32 v55, v55, v57
	v_fmamk_f32 v57, v58, 0x3f5db3d7, v5
	v_fmac_f32_e32 v5, 0xbf5db3d7, v58
	s_delay_alu instid0(VALU_DEP_4) | instskip(SKIP_3) | instid1(VALU_DEP_3)
	v_fma_f32 v6, -0.5, v61, v6
	v_sub_f32_e32 v61, v60, v59
	v_add_f32_e32 v58, v64, v85
	v_dual_add_f32 v64, v7, v60 :: v_dual_fmac_f32 v7, -0.5, v65
	v_dual_sub_f32 v65, v84, v85 :: v_dual_fmamk_f32 v60, v61, 0xbf5db3d7, v6
	s_delay_alu instid0(VALU_DEP_2) | instskip(NEXT) | instid1(VALU_DEP_2)
	v_dual_fmac_f32 v6, 0x3f5db3d7, v61 :: v_dual_add_f32 v59, v64, v59
	v_dual_add_f32 v64, v86, v87 :: v_dual_fmamk_f32 v61, v65, 0x3f5db3d7, v7
	v_fmac_f32_e32 v7, 0xbf5db3d7, v65
	v_dual_add_f32 v65, v62, v63 :: v_dual_add_f32 v66, v0, v86
	s_delay_alu instid0(VALU_DEP_3) | instskip(SKIP_1) | instid1(VALU_DEP_3)
	v_fma_f32 v0, -0.5, v64, v0
	v_add_f32_e32 v63, v68, v63
	v_dual_fmac_f32 v1, -0.5, v65 :: v_dual_add_f32 v62, v66, v87
	s_delay_alu instid0(VALU_DEP_3) | instskip(NEXT) | instid1(VALU_DEP_2)
	v_fmamk_f32 v64, v67, 0xbf5db3d7, v0
	v_dual_fmac_f32 v0, 0x3f5db3d7, v67 :: v_dual_fmamk_f32 v65, v69, 0x3f5db3d7, v1
	v_fmac_f32_e32 v1, 0xbf5db3d7, v69
	ds_store_2addr_b64 v239, v[20:21], v[24:25] offset1:51
	ds_store_2addr_b64 v153, v[2:3], v[26:27] offset0:98 offset1:149
	ds_store_2addr_b64 v155, v[28:29], v[32:33] offset0:100 offset1:151
	;; [unrolled: 1-line block ×15, first 2 shown]
	ds_store_b64 v239, v[0:1] offset:13056
	global_wb scope:SCOPE_SE
	s_wait_dscnt 0x0
	s_barrier_signal -1
	s_barrier_wait -1
	global_inv scope:SCOPE_SE
	scratch_load_b64 v[7:8], off, off offset:104 th:TH_LOAD_LU ; 8-byte Folded Reload
	ds_load_2addr_b64 v[0:3], v239 offset1:99
	v_mad_co_u64_u32 v[27:28], null, s4, v236, 0
	s_wait_loadcnt_dscnt 0x0
	v_mul_f32_e32 v4, v8, v1
	v_mul_f32_e32 v5, v8, v0
	scratch_load_b64 v[8:9], off, off offset:112 th:TH_LOAD_LU ; 8-byte Folded Reload
	v_fmac_f32_e32 v4, v7, v0
	v_fma_f32 v0, v7, v1, -v5
	s_delay_alu instid0(VALU_DEP_1) | instskip(SKIP_1) | instid1(VALU_DEP_1)
	v_cvt_f64_f32_e32 v[11:12], v0
	s_wait_alu 0xfffe
	v_mul_f64_e32 v[11:12], s[2:3], v[11:12]
	s_wait_loadcnt 0x0
	v_mul_f32_e32 v6, v9, v3
	v_mul_f32_e32 v1, v9, v2
	v_cvt_f64_f32_e32 v[9:10], v4
	v_add_nc_u32_e32 v4, 0x400, v239
	s_delay_alu instid0(VALU_DEP_4) | instskip(NEXT) | instid1(VALU_DEP_4)
	v_fmac_f32_e32 v6, v8, v2
	v_fma_f32 v0, v8, v3, -v1
	s_delay_alu instid0(VALU_DEP_2) | instskip(NEXT) | instid1(VALU_DEP_2)
	v_cvt_f64_f32_e32 v[13:14], v6
	v_cvt_f64_f32_e32 v[15:16], v0
	ds_load_2addr_b64 v[0:3], v4 offset0:70 offset1:169
	ds_load_2addr_b64 v[5:8], v159 offset0:140 offset1:239
	s_clause 0x2
	scratch_load_b64 v[20:21], off, off offset:72 th:TH_LOAD_LU
	scratch_load_b64 v[24:25], off, off offset:80 th:TH_LOAD_LU
	;; [unrolled: 1-line block ×3, first 2 shown]
	v_mul_f64_e32 v[9:10], s[2:3], v[9:10]
	v_mul_f64_e32 v[13:14], s[2:3], v[13:14]
	;; [unrolled: 1-line block ×3, first 2 shown]
	s_delay_alu instid0(VALU_DEP_3)
	v_cvt_f32_f64_e32 v9, v[9:10]
	v_cvt_f32_f64_e32 v10, v[11:12]
	v_mov_b32_e32 v11, v28
	v_cvt_f32_f64_e32 v12, v[13:14]
	v_cvt_f32_f64_e32 v13, v[15:16]
	s_wait_loadcnt_dscnt 0x201
	v_mul_f32_e32 v17, v21, v1
	s_wait_loadcnt 0x0
	v_dual_mul_f32 v18, v21, v0 :: v_dual_mul_f32 v19, v23, v3
	s_wait_dscnt 0x0
	v_mul_f32_e32 v21, v25, v6
	v_fmac_f32_e32 v17, v20, v0
	s_delay_alu instid0(VALU_DEP_3)
	v_fma_f32 v18, v20, v1, -v18
	v_mul_f32_e32 v20, v23, v2
	v_fmac_f32_e32 v19, v22, v2
	v_fmac_f32_e32 v21, v24, v5
	v_cvt_f64_f32_e32 v[0:1], v17
	v_cvt_f64_f32_e32 v[17:18], v18
	v_fma_f32 v20, v22, v3, -v20
	v_mul_f32_e32 v22, v25, v5
	scratch_load_b64 v[25:26], off, off offset:88 th:TH_LOAD_LU ; 8-byte Folded Reload
	v_cvt_f64_f32_e32 v[2:3], v19
	v_cvt_f64_f32_e32 v[19:20], v20
	v_fma_f32 v22, v24, v6, -v22
	v_cvt_f64_f32_e32 v[5:6], v21
	s_delay_alu instid0(VALU_DEP_2)
	v_cvt_f64_f32_e32 v[21:22], v22
	v_mul_f64_e32 v[0:1], s[2:3], v[0:1]
	v_mul_f64_e32 v[14:15], s[2:3], v[17:18]
	v_mad_co_u64_u32 v[16:17], null, s5, v236, v[11:12]
	v_mul_f64_e32 v[17:18], s[2:3], v[2:3]
	v_mul_f64_e32 v[19:20], s[2:3], v[19:20]
	s_delay_alu instid0(VALU_DEP_3)
	v_mov_b32_e32 v28, v16
	v_mul_f64_e32 v[21:22], s[2:3], v[21:22]
	v_cvt_f32_f64_e32 v0, v[0:1]
	v_cvt_f32_f64_e32 v1, v[14:15]
	s_wait_loadcnt 0x0
	v_mul_f32_e32 v23, v26, v8
	v_mul_f32_e32 v24, v26, v7
	s_delay_alu instid0(VALU_DEP_2) | instskip(NEXT) | instid1(VALU_DEP_2)
	v_fmac_f32_e32 v23, v25, v7
	v_fma_f32 v25, v25, v8, -v24
	s_delay_alu instid0(VALU_DEP_2) | instskip(SKIP_4) | instid1(VALU_DEP_1)
	v_cvt_f64_f32_e32 v[7:8], v23
	scratch_load_b64 v[23:24], off, off offset:32 th:TH_LOAD_LU ; 8-byte Folded Reload
	v_cvt_f64_f32_e32 v[25:26], v25
	s_wait_loadcnt 0x0
	v_mov_b32_e32 v29, v23
	v_mad_co_u64_u32 v[23:24], null, s6, v29, 0
	s_delay_alu instid0(VALU_DEP_1) | instskip(SKIP_1) | instid1(VALU_DEP_4)
	v_mad_co_u64_u32 v[29:30], null, s7, v29, v[24:25]
	s_mul_u64 s[6:7], s[4:5], 0x63
	v_mul_f64_e32 v[25:26], s[2:3], v[25:26]
	s_wait_alu 0xfffe
	s_lshl_b64 s[6:7], s[6:7], 3
	s_delay_alu instid0(VALU_DEP_2) | instskip(SKIP_2) | instid1(VALU_DEP_3)
	v_mov_b32_e32 v24, v29
	v_mul_f64_e32 v[29:30], s[2:3], v[5:6]
	v_lshlrev_b64_e32 v[5:6], 3, v[27:28]
	v_lshlrev_b64_e32 v[2:3], 3, v[23:24]
	v_mul_f64_e32 v[23:24], s[2:3], v[7:8]
	s_delay_alu instid0(VALU_DEP_2) | instskip(SKIP_1) | instid1(VALU_DEP_3)
	v_add_co_u32 v2, s0, s10, v2
	s_wait_alu 0xf1ff
	v_add_co_ci_u32_e64 v3, s0, s11, v3, s0
	s_delay_alu instid0(VALU_DEP_2) | instskip(SKIP_1) | instid1(VALU_DEP_2)
	v_add_co_u32 v27, s0, v2, v5
	s_wait_alu 0xf1ff
	v_add_co_ci_u32_e64 v28, s0, v3, v6, s0
	ds_load_2addr_b64 v[5:8], v155 offset0:82 offset1:181
	s_wait_alu 0xfffe
	v_add_co_u32 v31, s0, v27, s6
	s_wait_alu 0xf1ff
	v_add_co_ci_u32_e64 v32, s0, s7, v28, s0
	s_clause 0x1
	global_store_b64 v[27:28], v[9:10], off
	global_store_b64 v[31:32], v[12:13], off
	s_clause 0x1
	scratch_load_b64 v[14:15], off, off offset:64 th:TH_LOAD_LU
	scratch_load_b64 v[35:36], off, off offset:40 th:TH_LOAD_LU
	v_add_co_u32 v27, s0, v31, s6
	s_wait_alu 0xf1ff
	v_add_co_ci_u32_e64 v28, s0, s7, v32, s0
	v_cvt_f32_f64_e32 v32, v[19:20]
	s_clause 0x2
	scratch_load_b64 v[19:20], off, off offset:24 th:TH_LOAD_LU
	scratch_load_b64 v[45:46], off, off offset:8 th:TH_LOAD_LU
	scratch_load_b64 v[52:53], off, off th:TH_LOAD_LU
	ds_load_2addr_b64 v[9:12], v154 offset0:24 offset1:123
	v_cvt_f32_f64_e32 v31, v[17:18]
	v_cvt_f32_f64_e32 v29, v[29:30]
	;; [unrolled: 1-line block ×4, first 2 shown]
	scratch_load_b64 v[58:59], off, off offset:48 th:TH_LOAD_LU ; 8-byte Folded Reload
	v_cvt_f32_f64_e32 v21, v[23:24]
	s_wait_loadcnt_dscnt 0x501
	v_mul_f32_e32 v17, v15, v6
	s_wait_loadcnt 0x4
	v_dual_mul_f32 v13, v15, v5 :: v_dual_mul_f32 v18, v36, v8
	s_delay_alu instid0(VALU_DEP_2) | instskip(NEXT) | instid1(VALU_DEP_2)
	v_fmac_f32_e32 v17, v14, v5
	v_fma_f32 v5, v14, v6, -v13
	ds_load_2addr_b64 v[13:16], v158 offset0:94 offset1:193
	v_fmac_f32_e32 v18, v35, v7
	s_wait_loadcnt_dscnt 0x301
	v_mul_f32_e32 v6, v20, v10
	v_cvt_f64_f32_e32 v[23:24], v17
	v_cvt_f64_f32_e32 v[25:26], v5
	v_mul_f32_e32 v5, v36, v7
	v_mul_f32_e32 v7, v20, v9
	;; [unrolled: 1-line block ×3, first 2 shown]
	v_fmac_f32_e32 v6, v19, v9
	v_cvt_f64_f32_e32 v[33:34], v18
	v_fma_f32 v8, v35, v8, -v5
	v_fma_f32 v10, v19, v10, -v7
	v_fmac_f32_e32 v17, v234, v11
	v_add_nc_u32_e32 v5, 0x2400, v239
	v_cvt_f64_f32_e32 v[37:38], v6
	v_cvt_f64_f32_e32 v[35:36], v8
	;; [unrolled: 1-line block ×3, first 2 shown]
	v_mul_f32_e32 v10, v235, v11
	ds_load_2addr_b64 v[6:9], v5 offset0:36 offset1:135
	v_cvt_f64_f32_e32 v[41:42], v17
	s_wait_loadcnt_dscnt 0x201
	v_mul_f32_e32 v43, v46, v14
	v_mul_f32_e32 v11, v46, v13
	scratch_load_b64 v[46:47], off, off offset:16 th:TH_LOAD_LU ; 8-byte Folded Reload
	ds_load_2addr_b64 v[17:20], v157 offset0:106 offset1:205
	v_fma_f32 v10, v234, v12, -v10
	v_fmac_f32_e32 v43, v45, v13
	v_fma_f32 v14, v45, v14, -v11
	s_delay_alu instid0(VALU_DEP_3)
	v_cvt_f64_f32_e32 v[10:11], v10
	s_wait_loadcnt_dscnt 0x201
	v_dual_mul_f32 v49, v231, v6 :: v_dual_mul_f32 v50, v53, v9
	v_mul_f32_e32 v51, v53, v8
	v_mul_f64_e32 v[23:24], s[2:3], v[23:24]
	v_mul_f64_e32 v[25:26], s[2:3], v[25:26]
	s_wait_dscnt 0x0
	v_mul_f32_e32 v53, v233, v18
	v_fma_f32 v49, v230, v7, -v49
	s_wait_loadcnt 0x1
	v_mul_f32_e32 v55, v59, v20
	v_fmac_f32_e32 v50, v52, v8
	v_fma_f32 v51, v52, v9, -v51
	v_fmac_f32_e32 v53, v232, v17
	v_cvt_f64_f32_e32 v[8:9], v49
	v_fmac_f32_e32 v55, v58, v19
	v_cvt_f64_f32_e32 v[49:50], v50
	v_cvt_f64_f32_e32 v[51:52], v51
	;; [unrolled: 1-line block ×3, first 2 shown]
	v_mul_f64_e32 v[33:34], s[2:3], v[33:34]
	v_mul_f64_e32 v[35:36], s[2:3], v[35:36]
	;; [unrolled: 1-line block ×7, first 2 shown]
	v_cvt_f32_f64_e32 v33, v[33:34]
	v_cvt_f32_f64_e32 v34, v[35:36]
	;; [unrolled: 1-line block ×6, first 2 shown]
	s_wait_loadcnt 0x0
	v_mul_f32_e32 v12, v47, v15
	v_mul_f32_e32 v44, v47, v16
	s_delay_alu instid0(VALU_DEP_2) | instskip(NEXT) | instid1(VALU_DEP_2)
	v_fma_f32 v16, v46, v16, -v12
	v_fmac_f32_e32 v44, v46, v15
	ds_load_b64 v[45:46], v239 offset:12672
	v_cvt_f64_f32_e32 v[12:13], v43
	v_cvt_f64_f32_e32 v[14:15], v14
	v_cvt_f64_f32_e32 v[47:48], v16
	v_mul_f32_e32 v16, v231, v7
	v_cvt_f64_f32_e32 v[43:44], v44
	s_delay_alu instid0(VALU_DEP_2) | instskip(NEXT) | instid1(VALU_DEP_1)
	v_fmac_f32_e32 v16, v230, v6
	v_cvt_f64_f32_e32 v[6:7], v16
	v_dual_mul_f32 v16, v233, v17 :: v_dual_mul_f32 v17, v59, v19
	scratch_load_b64 v[59:60], off, off offset:56 th:TH_LOAD_LU ; 8-byte Folded Reload
	v_fma_f32 v16, v232, v18, -v16
	v_fma_f32 v20, v58, v20, -v17
	v_cvt_f64_f32_e32 v[18:19], v55
	s_delay_alu instid0(VALU_DEP_3)
	v_cvt_f64_f32_e32 v[16:17], v16
	v_mul_f64_e32 v[12:13], s[2:3], v[12:13]
	v_mul_f64_e32 v[14:15], s[2:3], v[14:15]
	;; [unrolled: 1-line block ×5, first 2 shown]
	v_cvt_f32_f64_e32 v10, v[12:13]
	v_cvt_f32_f64_e32 v11, v[14:15]
	;; [unrolled: 1-line block ×6, first 2 shown]
	s_wait_loadcnt_dscnt 0x0
	v_mul_f32_e32 v56, v60, v46
	v_mul_f32_e32 v57, v60, v45
	s_delay_alu instid0(VALU_DEP_2) | instskip(NEXT) | instid1(VALU_DEP_2)
	v_fmac_f32_e32 v56, v59, v45
	v_fma_f32 v57, v59, v46, -v57
	v_cvt_f64_f32_e32 v[45:46], v20
	v_add_co_u32 v59, s0, v27, s6
	s_delay_alu instid0(VALU_DEP_4) | instskip(NEXT) | instid1(VALU_DEP_4)
	v_cvt_f64_f32_e32 v[55:56], v56
	v_cvt_f64_f32_e32 v[57:58], v57
	s_wait_alu 0xf1ff
	v_add_co_ci_u32_e64 v60, s0, s7, v28, s0
	v_add_co_u32 v61, s0, v59, s6
	s_wait_alu 0xf1ff
	s_delay_alu instid0(VALU_DEP_2) | instskip(NEXT) | instid1(VALU_DEP_2)
	v_add_co_ci_u32_e64 v62, s0, s7, v60, s0
	v_add_co_u32 v63, s0, v61, s6
	s_wait_alu 0xf1ff
	s_delay_alu instid0(VALU_DEP_2)
	v_add_co_ci_u32_e64 v64, s0, s7, v62, s0
	s_clause 0x2
	global_store_b64 v[27:28], v[0:1], off
	global_store_b64 v[59:60], v[31:32], off
	;; [unrolled: 1-line block ×4, first 2 shown]
	v_mul_f64_e32 v[0:1], s[2:3], v[43:44]
	v_mul_f64_e32 v[20:21], s[2:3], v[47:48]
	;; [unrolled: 1-line block ×5, first 2 shown]
	v_cvt_f32_f64_e32 v22, v[23:24]
	v_cvt_f32_f64_e32 v23, v[25:26]
	v_add_co_u32 v24, s0, v63, s6
	s_wait_alu 0xf1ff
	v_add_co_ci_u32_e64 v25, s0, s7, v64, s0
	s_delay_alu instid0(VALU_DEP_2) | instskip(SKIP_1) | instid1(VALU_DEP_2)
	v_add_co_u32 v35, s0, v24, s6
	s_wait_alu 0xf1ff
	v_add_co_ci_u32_e64 v36, s0, s7, v25, s0
	s_delay_alu instid0(VALU_DEP_2) | instskip(SKIP_1) | instid1(VALU_DEP_2)
	v_add_co_u32 v39, s0, v35, s6
	s_wait_alu 0xf1ff
	v_add_co_ci_u32_e64 v40, s0, s7, v36, s0
	v_mul_f64_e32 v[43:44], s[2:3], v[45:46]
	s_delay_alu instid0(VALU_DEP_3)
	v_add_co_u32 v12, s0, v39, s6
	v_mul_f64_e32 v[45:46], s[2:3], v[55:56]
	v_mul_f64_e32 v[47:48], s[2:3], v[57:58]
	s_wait_alu 0xf1ff
	v_add_co_ci_u32_e64 v13, s0, s7, v40, s0
	v_cvt_f32_f64_e32 v0, v[0:1]
	v_cvt_f32_f64_e32 v1, v[20:21]
	v_cvt_f32_f64_e32 v8, v[27:28]
	v_cvt_f32_f64_e32 v9, v[29:30]
	v_add_co_u32 v20, s0, v12, s6
	v_cvt_f32_f64_e32 v14, v[31:32]
	s_wait_alu 0xf1ff
	v_add_co_ci_u32_e64 v21, s0, s7, v13, s0
	global_store_b64 v[24:25], v[22:23], off
	v_add_co_u32 v22, s0, v20, s6
	s_wait_alu 0xf1ff
	v_add_co_ci_u32_e64 v23, s0, s7, v21, s0
	global_store_b64 v[35:36], v[33:34], off
	v_add_co_u32 v24, s0, v22, s6
	;; [unrolled: 4-line block ×3, first 2 shown]
	v_cvt_f32_f64_e32 v17, v[43:44]
	s_wait_alu 0xf1ff
	v_add_co_ci_u32_e64 v27, s0, s7, v25, s0
	v_cvt_f32_f64_e32 v18, v[45:46]
	v_cvt_f32_f64_e32 v19, v[47:48]
	global_store_b64 v[12:13], v[41:42], off
	v_add_co_u32 v12, s0, v26, s6
	s_wait_alu 0xf1ff
	v_add_co_ci_u32_e64 v13, s0, s7, v27, s0
	global_store_b64 v[20:21], v[10:11], off
	v_add_co_u32 v10, s0, v12, s6
	s_wait_alu 0xf1ff
	v_add_co_ci_u32_e64 v11, s0, s7, v13, s0
	;; [unrolled: 4-line block ×3, first 2 shown]
	global_store_b64 v[24:25], v[6:7], off
	global_store_b64 v[26:27], v[8:9], off
	;; [unrolled: 1-line block ×5, first 2 shown]
	s_and_b32 exec_lo, exec_lo, vcc_lo
	s_cbranch_execz .LBB0_15
; %bb.14:
	global_load_b64 v[10:11], v[200:201], off offset:408
	ds_load_2addr_b64 v[6:9], v239 offset0:51 offset1:150
	v_mad_co_u64_u32 v[0:1], null, 0xffffd018, s4, v[0:1]
	s_mul_i32 s0, s5, 0xffffd018
	s_wait_alu 0xfffe
	s_sub_co_i32 s0, s0, s4
	s_wait_loadcnt_dscnt 0x0
	s_wait_alu 0xfffe
	s_delay_alu instid0(VALU_DEP_1) | instskip(SKIP_1) | instid1(VALU_DEP_2)
	v_dual_mul_f32 v12, v7, v11 :: v_dual_add_nc_u32 v1, s0, v1
	v_mul_f32_e32 v11, v6, v11
	v_fmac_f32_e32 v12, v6, v10
	s_delay_alu instid0(VALU_DEP_2) | instskip(NEXT) | instid1(VALU_DEP_2)
	v_fma_f32 v10, v10, v7, -v11
	v_cvt_f64_f32_e32 v[6:7], v12
	s_delay_alu instid0(VALU_DEP_2) | instskip(NEXT) | instid1(VALU_DEP_2)
	v_cvt_f64_f32_e32 v[10:11], v10
	v_mul_f64_e32 v[6:7], s[2:3], v[6:7]
	s_delay_alu instid0(VALU_DEP_2) | instskip(NEXT) | instid1(VALU_DEP_2)
	v_mul_f64_e32 v[10:11], s[2:3], v[10:11]
	v_cvt_f32_f64_e32 v6, v[6:7]
	s_delay_alu instid0(VALU_DEP_2)
	v_cvt_f32_f64_e32 v7, v[10:11]
	global_store_b64 v[0:1], v[6:7], off
	global_load_b64 v[6:7], v[200:201], off offset:1200
	v_add_co_u32 v0, vcc_lo, v0, s6
	s_wait_alu 0xfffd
	v_add_co_ci_u32_e32 v1, vcc_lo, s7, v1, vcc_lo
	s_wait_loadcnt 0x0
	v_mul_f32_e32 v10, v9, v7
	v_mul_f32_e32 v7, v8, v7
	s_delay_alu instid0(VALU_DEP_2) | instskip(NEXT) | instid1(VALU_DEP_2)
	v_fmac_f32_e32 v10, v8, v6
	v_fma_f32 v8, v6, v9, -v7
	s_delay_alu instid0(VALU_DEP_2) | instskip(NEXT) | instid1(VALU_DEP_2)
	v_cvt_f64_f32_e32 v[6:7], v10
	v_cvt_f64_f32_e32 v[8:9], v8
	s_delay_alu instid0(VALU_DEP_2) | instskip(NEXT) | instid1(VALU_DEP_2)
	v_mul_f64_e32 v[6:7], s[2:3], v[6:7]
	v_mul_f64_e32 v[8:9], s[2:3], v[8:9]
	s_delay_alu instid0(VALU_DEP_2) | instskip(NEXT) | instid1(VALU_DEP_2)
	v_cvt_f32_f64_e32 v6, v[6:7]
	v_cvt_f32_f64_e32 v7, v[8:9]
	global_store_b64 v[0:1], v[6:7], off
	global_load_b64 v[10:11], v[200:201], off offset:1992
	ds_load_2addr_b64 v[6:9], v4 offset0:121 offset1:220
	v_add_co_u32 v0, vcc_lo, v0, s6
	s_wait_alu 0xfffd
	v_add_co_ci_u32_e32 v1, vcc_lo, s7, v1, vcc_lo
	s_wait_loadcnt_dscnt 0x0
	v_mul_f32_e32 v4, v7, v11
	v_mul_f32_e32 v11, v6, v11
	s_delay_alu instid0(VALU_DEP_2) | instskip(NEXT) | instid1(VALU_DEP_2)
	v_fmac_f32_e32 v4, v6, v10
	v_fma_f32 v10, v10, v7, -v11
	s_delay_alu instid0(VALU_DEP_2) | instskip(NEXT) | instid1(VALU_DEP_2)
	v_cvt_f64_f32_e32 v[6:7], v4
	v_cvt_f64_f32_e32 v[10:11], v10
	s_delay_alu instid0(VALU_DEP_2) | instskip(NEXT) | instid1(VALU_DEP_2)
	v_mul_f64_e32 v[6:7], s[2:3], v[6:7]
	v_mul_f64_e32 v[10:11], s[2:3], v[10:11]
	s_delay_alu instid0(VALU_DEP_2) | instskip(NEXT) | instid1(VALU_DEP_2)
	v_cvt_f32_f64_e32 v6, v[6:7]
	v_cvt_f32_f64_e32 v7, v[10:11]
	global_store_b64 v[0:1], v[6:7], off
	global_load_b64 v[6:7], v[200:201], off offset:2784
	v_add_co_u32 v0, vcc_lo, v0, s6
	s_wait_alu 0xfffd
	v_add_co_ci_u32_e32 v1, vcc_lo, s7, v1, vcc_lo
	s_wait_loadcnt 0x0
	v_mul_f32_e32 v4, v9, v7
	v_mul_f32_e32 v7, v8, v7
	s_delay_alu instid0(VALU_DEP_2) | instskip(NEXT) | instid1(VALU_DEP_2)
	v_fmac_f32_e32 v4, v8, v6
	v_fma_f32 v8, v6, v9, -v7
	s_delay_alu instid0(VALU_DEP_2) | instskip(NEXT) | instid1(VALU_DEP_2)
	v_cvt_f64_f32_e32 v[6:7], v4
	v_cvt_f64_f32_e32 v[8:9], v8
	s_delay_alu instid0(VALU_DEP_2) | instskip(NEXT) | instid1(VALU_DEP_2)
	v_mul_f64_e32 v[6:7], s[2:3], v[6:7]
	v_mul_f64_e32 v[8:9], s[2:3], v[8:9]
	s_delay_alu instid0(VALU_DEP_2) | instskip(NEXT) | instid1(VALU_DEP_2)
	v_cvt_f32_f64_e32 v6, v[6:7]
	v_cvt_f32_f64_e32 v7, v[8:9]
	global_store_b64 v[0:1], v[6:7], off
	global_load_b64 v[10:11], v[200:201], off offset:3576
	ds_load_2addr_b64 v[6:9], v156 offset0:63 offset1:162
	v_add_co_u32 v0, vcc_lo, v0, s6
	s_wait_alu 0xfffd
	v_add_co_ci_u32_e32 v1, vcc_lo, s7, v1, vcc_lo
	s_wait_loadcnt_dscnt 0x0
	v_mul_f32_e32 v4, v7, v11
	v_mul_f32_e32 v11, v6, v11
	s_delay_alu instid0(VALU_DEP_2) | instskip(NEXT) | instid1(VALU_DEP_2)
	v_fmac_f32_e32 v4, v6, v10
	v_fma_f32 v10, v10, v7, -v11
	s_delay_alu instid0(VALU_DEP_2) | instskip(NEXT) | instid1(VALU_DEP_2)
	v_cvt_f64_f32_e32 v[6:7], v4
	v_cvt_f64_f32_e32 v[10:11], v10
	s_delay_alu instid0(VALU_DEP_2) | instskip(NEXT) | instid1(VALU_DEP_2)
	v_mul_f64_e32 v[6:7], s[2:3], v[6:7]
	v_mul_f64_e32 v[10:11], s[2:3], v[10:11]
	s_delay_alu instid0(VALU_DEP_2) | instskip(NEXT) | instid1(VALU_DEP_2)
	v_cvt_f32_f64_e32 v6, v[6:7]
	;; [unrolled: 41-line block ×7, first 2 shown]
	v_cvt_f32_f64_e32 v5, v[8:9]
	global_store_b64 v[0:1], v[4:5], off
	global_load_b64 v[4:5], v[200:201], off offset:12288
	v_mad_co_u64_u32 v[0:1], null, 0x630, s4, v[0:1]
	s_wait_loadcnt 0x0
	v_mul_f32_e32 v8, v7, v5
	v_mul_f32_e32 v5, v6, v5
	s_delay_alu instid0(VALU_DEP_2) | instskip(NEXT) | instid1(VALU_DEP_2)
	v_fmac_f32_e32 v8, v6, v4
	v_fma_f32 v6, v4, v7, -v5
	s_delay_alu instid0(VALU_DEP_2) | instskip(NEXT) | instid1(VALU_DEP_2)
	v_cvt_f64_f32_e32 v[4:5], v8
	v_cvt_f64_f32_e32 v[6:7], v6
	v_mad_co_u64_u32 v[8:9], null, s4, v229, 0
	s_delay_alu instid0(VALU_DEP_3) | instskip(NEXT) | instid1(VALU_DEP_3)
	v_mul_f64_e32 v[4:5], s[2:3], v[4:5]
	v_mul_f64_e32 v[6:7], s[2:3], v[6:7]
	s_delay_alu instid0(VALU_DEP_2) | instskip(NEXT) | instid1(VALU_DEP_2)
	v_cvt_f32_f64_e32 v4, v[4:5]
	v_cvt_f32_f64_e32 v5, v[6:7]
	v_mov_b32_e32 v6, v9
	s_delay_alu instid0(VALU_DEP_1) | instskip(NEXT) | instid1(VALU_DEP_1)
	v_mad_co_u64_u32 v[6:7], null, s5, v229, v[6:7]
	v_mov_b32_e32 v9, v6
	s_delay_alu instid0(VALU_DEP_1) | instskip(NEXT) | instid1(VALU_DEP_1)
	v_lshlrev_b64_e32 v[6:7], 3, v[8:9]
	v_add_co_u32 v2, vcc_lo, v2, v6
	s_wait_alu 0xfffd
	s_delay_alu instid0(VALU_DEP_2)
	v_add_co_ci_u32_e32 v3, vcc_lo, v3, v7, vcc_lo
	global_store_b64 v[2:3], v[4:5], off
	global_load_b64 v[2:3], v[200:201], off offset:13080
	ds_load_b64 v[4:5], v239 offset:13080
	s_wait_loadcnt_dscnt 0x0
	v_mul_f32_e32 v6, v5, v3
	v_mul_f32_e32 v3, v4, v3
	s_delay_alu instid0(VALU_DEP_2) | instskip(NEXT) | instid1(VALU_DEP_2)
	v_fmac_f32_e32 v6, v4, v2
	v_fma_f32 v4, v2, v5, -v3
	s_delay_alu instid0(VALU_DEP_2) | instskip(NEXT) | instid1(VALU_DEP_2)
	v_cvt_f64_f32_e32 v[2:3], v6
	v_cvt_f64_f32_e32 v[4:5], v4
	s_delay_alu instid0(VALU_DEP_2) | instskip(NEXT) | instid1(VALU_DEP_2)
	v_mul_f64_e32 v[2:3], s[2:3], v[2:3]
	v_mul_f64_e32 v[4:5], s[2:3], v[4:5]
	s_delay_alu instid0(VALU_DEP_2) | instskip(NEXT) | instid1(VALU_DEP_2)
	v_cvt_f32_f64_e32 v2, v[2:3]
	v_cvt_f32_f64_e32 v3, v[4:5]
	s_delay_alu instid0(VALU_DEP_2) | instskip(NEXT) | instid1(VALU_DEP_1)
	v_mad_co_u64_u32 v[4:5], null, 0x630, s5, v[1:2]
	v_mov_b32_e32 v1, v4
	global_store_b64 v[0:1], v[2:3], off
.LBB0_15:
	s_nop 0
	s_sendmsg sendmsg(MSG_DEALLOC_VGPRS)
	s_endpgm
	.section	.rodata,"a",@progbits
	.p2align	6, 0x0
	.amdhsa_kernel bluestein_single_fwd_len1683_dim1_sp_op_CI_CI
		.amdhsa_group_segment_fixed_size 13464
		.amdhsa_private_segment_fixed_size 268
		.amdhsa_kernarg_size 104
		.amdhsa_user_sgpr_count 2
		.amdhsa_user_sgpr_dispatch_ptr 0
		.amdhsa_user_sgpr_queue_ptr 0
		.amdhsa_user_sgpr_kernarg_segment_ptr 1
		.amdhsa_user_sgpr_dispatch_id 0
		.amdhsa_user_sgpr_private_segment_size 0
		.amdhsa_wavefront_size32 1
		.amdhsa_uses_dynamic_stack 0
		.amdhsa_enable_private_segment 1
		.amdhsa_system_sgpr_workgroup_id_x 1
		.amdhsa_system_sgpr_workgroup_id_y 0
		.amdhsa_system_sgpr_workgroup_id_z 0
		.amdhsa_system_sgpr_workgroup_info 0
		.amdhsa_system_vgpr_workitem_id 0
		.amdhsa_next_free_vgpr 256
		.amdhsa_next_free_sgpr 16
		.amdhsa_reserve_vcc 1
		.amdhsa_float_round_mode_32 0
		.amdhsa_float_round_mode_16_64 0
		.amdhsa_float_denorm_mode_32 3
		.amdhsa_float_denorm_mode_16_64 3
		.amdhsa_fp16_overflow 0
		.amdhsa_workgroup_processor_mode 1
		.amdhsa_memory_ordered 1
		.amdhsa_forward_progress 0
		.amdhsa_round_robin_scheduling 0
		.amdhsa_exception_fp_ieee_invalid_op 0
		.amdhsa_exception_fp_denorm_src 0
		.amdhsa_exception_fp_ieee_div_zero 0
		.amdhsa_exception_fp_ieee_overflow 0
		.amdhsa_exception_fp_ieee_underflow 0
		.amdhsa_exception_fp_ieee_inexact 0
		.amdhsa_exception_int_div_zero 0
	.end_amdhsa_kernel
	.text
.Lfunc_end0:
	.size	bluestein_single_fwd_len1683_dim1_sp_op_CI_CI, .Lfunc_end0-bluestein_single_fwd_len1683_dim1_sp_op_CI_CI
                                        ; -- End function
	.section	.AMDGPU.csdata,"",@progbits
; Kernel info:
; codeLenInByte = 54884
; NumSgprs: 18
; NumVgprs: 256
; ScratchSize: 268
; MemoryBound: 0
; FloatMode: 240
; IeeeMode: 1
; LDSByteSize: 13464 bytes/workgroup (compile time only)
; SGPRBlocks: 2
; VGPRBlocks: 31
; NumSGPRsForWavesPerEU: 18
; NumVGPRsForWavesPerEU: 256
; Occupancy: 5
; WaveLimiterHint : 1
; COMPUTE_PGM_RSRC2:SCRATCH_EN: 1
; COMPUTE_PGM_RSRC2:USER_SGPR: 2
; COMPUTE_PGM_RSRC2:TRAP_HANDLER: 0
; COMPUTE_PGM_RSRC2:TGID_X_EN: 1
; COMPUTE_PGM_RSRC2:TGID_Y_EN: 0
; COMPUTE_PGM_RSRC2:TGID_Z_EN: 0
; COMPUTE_PGM_RSRC2:TIDIG_COMP_CNT: 0
	.text
	.p2alignl 7, 3214868480
	.fill 96, 4, 3214868480
	.type	__hip_cuid_1cbcede7104fea9e,@object ; @__hip_cuid_1cbcede7104fea9e
	.section	.bss,"aw",@nobits
	.globl	__hip_cuid_1cbcede7104fea9e
__hip_cuid_1cbcede7104fea9e:
	.byte	0                               ; 0x0
	.size	__hip_cuid_1cbcede7104fea9e, 1

	.ident	"AMD clang version 19.0.0git (https://github.com/RadeonOpenCompute/llvm-project roc-6.4.0 25133 c7fe45cf4b819c5991fe208aaa96edf142730f1d)"
	.section	".note.GNU-stack","",@progbits
	.addrsig
	.addrsig_sym __hip_cuid_1cbcede7104fea9e
	.amdgpu_metadata
---
amdhsa.kernels:
  - .args:
      - .actual_access:  read_only
        .address_space:  global
        .offset:         0
        .size:           8
        .value_kind:     global_buffer
      - .actual_access:  read_only
        .address_space:  global
        .offset:         8
        .size:           8
        .value_kind:     global_buffer
      - .actual_access:  read_only
        .address_space:  global
        .offset:         16
        .size:           8
        .value_kind:     global_buffer
      - .actual_access:  read_only
        .address_space:  global
        .offset:         24
        .size:           8
        .value_kind:     global_buffer
      - .actual_access:  read_only
        .address_space:  global
        .offset:         32
        .size:           8
        .value_kind:     global_buffer
      - .offset:         40
        .size:           8
        .value_kind:     by_value
      - .address_space:  global
        .offset:         48
        .size:           8
        .value_kind:     global_buffer
      - .address_space:  global
        .offset:         56
        .size:           8
        .value_kind:     global_buffer
      - .address_space:  global
        .offset:         64
        .size:           8
        .value_kind:     global_buffer
      - .address_space:  global
        .offset:         72
        .size:           8
        .value_kind:     global_buffer
      - .offset:         80
        .size:           4
        .value_kind:     by_value
      - .address_space:  global
        .offset:         88
        .size:           8
        .value_kind:     global_buffer
      - .address_space:  global
        .offset:         96
        .size:           8
        .value_kind:     global_buffer
    .group_segment_fixed_size: 13464
    .kernarg_segment_align: 8
    .kernarg_segment_size: 104
    .language:       OpenCL C
    .language_version:
      - 2
      - 0
    .max_flat_workgroup_size: 51
    .name:           bluestein_single_fwd_len1683_dim1_sp_op_CI_CI
    .private_segment_fixed_size: 268
    .sgpr_count:     18
    .sgpr_spill_count: 0
    .symbol:         bluestein_single_fwd_len1683_dim1_sp_op_CI_CI.kd
    .uniform_work_group_size: 1
    .uses_dynamic_stack: false
    .vgpr_count:     256
    .vgpr_spill_count: 66
    .wavefront_size: 32
    .workgroup_processor_mode: 1
amdhsa.target:   amdgcn-amd-amdhsa--gfx1201
amdhsa.version:
  - 1
  - 2
...

	.end_amdgpu_metadata
